;; amdgpu-corpus repo=ROCm/rocFFT kind=compiled arch=gfx1201 opt=O3
	.text
	.amdgcn_target "amdgcn-amd-amdhsa--gfx1201"
	.amdhsa_code_object_version 6
	.protected	fft_rtc_back_len2002_factors_2_13_7_11_wgs_182_tpt_182_halfLds_dp_ip_CI_unitstride_sbrr_C2R_dirReg ; -- Begin function fft_rtc_back_len2002_factors_2_13_7_11_wgs_182_tpt_182_halfLds_dp_ip_CI_unitstride_sbrr_C2R_dirReg
	.globl	fft_rtc_back_len2002_factors_2_13_7_11_wgs_182_tpt_182_halfLds_dp_ip_CI_unitstride_sbrr_C2R_dirReg
	.p2align	8
	.type	fft_rtc_back_len2002_factors_2_13_7_11_wgs_182_tpt_182_halfLds_dp_ip_CI_unitstride_sbrr_C2R_dirReg,@function
fft_rtc_back_len2002_factors_2_13_7_11_wgs_182_tpt_182_halfLds_dp_ip_CI_unitstride_sbrr_C2R_dirReg: ; @fft_rtc_back_len2002_factors_2_13_7_11_wgs_182_tpt_182_halfLds_dp_ip_CI_unitstride_sbrr_C2R_dirReg
; %bb.0:
	s_clause 0x2
	s_load_b128 s[4:7], s[0:1], 0x0
	s_load_b64 s[8:9], s[0:1], 0x50
	s_load_b64 s[10:11], s[0:1], 0x18
	v_mul_u32_u24_e32 v1, 0x169, v0
	v_mov_b32_e32 v3, 0
	s_delay_alu instid0(VALU_DEP_2) | instskip(NEXT) | instid1(VALU_DEP_1)
	v_lshrrev_b32_e32 v1, 16, v1
	v_add_nc_u32_e32 v5, ttmp9, v1
	v_mov_b32_e32 v1, 0
	v_mov_b32_e32 v2, 0
	;; [unrolled: 1-line block ×3, first 2 shown]
	s_wait_kmcnt 0x0
	v_cmp_lt_u64_e64 s2, s[6:7], 2
	s_delay_alu instid0(VALU_DEP_1)
	s_and_b32 vcc_lo, exec_lo, s2
	s_cbranch_vccnz .LBB0_8
; %bb.1:
	s_load_b64 s[2:3], s[0:1], 0x10
	v_mov_b32_e32 v1, 0
	v_mov_b32_e32 v2, 0
	s_add_nc_u64 s[12:13], s[10:11], 8
	s_mov_b64 s[14:15], 1
	s_wait_kmcnt 0x0
	s_add_nc_u64 s[16:17], s[2:3], 8
	s_mov_b32 s3, 0
.LBB0_2:                                ; =>This Inner Loop Header: Depth=1
	s_load_b64 s[18:19], s[16:17], 0x0
                                        ; implicit-def: $vgpr7_vgpr8
	s_mov_b32 s2, exec_lo
	s_wait_kmcnt 0x0
	v_or_b32_e32 v4, s19, v6
	s_delay_alu instid0(VALU_DEP_1)
	v_cmpx_ne_u64_e32 0, v[3:4]
	s_wait_alu 0xfffe
	s_xor_b32 s20, exec_lo, s2
	s_cbranch_execz .LBB0_4
; %bb.3:                                ;   in Loop: Header=BB0_2 Depth=1
	s_cvt_f32_u32 s2, s18
	s_cvt_f32_u32 s21, s19
	s_sub_nc_u64 s[24:25], 0, s[18:19]
	s_wait_alu 0xfffe
	s_delay_alu instid0(SALU_CYCLE_1) | instskip(SKIP_1) | instid1(SALU_CYCLE_2)
	s_fmamk_f32 s2, s21, 0x4f800000, s2
	s_wait_alu 0xfffe
	v_s_rcp_f32 s2, s2
	s_delay_alu instid0(TRANS32_DEP_1) | instskip(SKIP_1) | instid1(SALU_CYCLE_2)
	s_mul_f32 s2, s2, 0x5f7ffffc
	s_wait_alu 0xfffe
	s_mul_f32 s21, s2, 0x2f800000
	s_wait_alu 0xfffe
	s_delay_alu instid0(SALU_CYCLE_2) | instskip(SKIP_1) | instid1(SALU_CYCLE_2)
	s_trunc_f32 s21, s21
	s_wait_alu 0xfffe
	s_fmamk_f32 s2, s21, 0xcf800000, s2
	s_cvt_u32_f32 s23, s21
	s_wait_alu 0xfffe
	s_delay_alu instid0(SALU_CYCLE_1) | instskip(SKIP_1) | instid1(SALU_CYCLE_2)
	s_cvt_u32_f32 s22, s2
	s_wait_alu 0xfffe
	s_mul_u64 s[26:27], s[24:25], s[22:23]
	s_wait_alu 0xfffe
	s_mul_hi_u32 s29, s22, s27
	s_mul_i32 s28, s22, s27
	s_mul_hi_u32 s2, s22, s26
	s_mul_i32 s30, s23, s26
	s_wait_alu 0xfffe
	s_add_nc_u64 s[28:29], s[2:3], s[28:29]
	s_mul_hi_u32 s21, s23, s26
	s_mul_hi_u32 s31, s23, s27
	s_add_co_u32 s2, s28, s30
	s_wait_alu 0xfffe
	s_add_co_ci_u32 s2, s29, s21
	s_mul_i32 s26, s23, s27
	s_add_co_ci_u32 s27, s31, 0
	s_wait_alu 0xfffe
	s_add_nc_u64 s[26:27], s[2:3], s[26:27]
	s_wait_alu 0xfffe
	v_add_co_u32 v4, s2, s22, s26
	s_delay_alu instid0(VALU_DEP_1) | instskip(SKIP_1) | instid1(VALU_DEP_1)
	s_cmp_lg_u32 s2, 0
	s_add_co_ci_u32 s23, s23, s27
	v_readfirstlane_b32 s22, v4
	s_wait_alu 0xfffe
	s_delay_alu instid0(VALU_DEP_1)
	s_mul_u64 s[24:25], s[24:25], s[22:23]
	s_wait_alu 0xfffe
	s_mul_hi_u32 s27, s22, s25
	s_mul_i32 s26, s22, s25
	s_mul_hi_u32 s2, s22, s24
	s_mul_i32 s28, s23, s24
	s_wait_alu 0xfffe
	s_add_nc_u64 s[26:27], s[2:3], s[26:27]
	s_mul_hi_u32 s21, s23, s24
	s_mul_hi_u32 s22, s23, s25
	s_wait_alu 0xfffe
	s_add_co_u32 s2, s26, s28
	s_add_co_ci_u32 s2, s27, s21
	s_mul_i32 s24, s23, s25
	s_add_co_ci_u32 s25, s22, 0
	s_wait_alu 0xfffe
	s_add_nc_u64 s[24:25], s[2:3], s[24:25]
	s_wait_alu 0xfffe
	v_add_co_u32 v4, s2, v4, s24
	s_delay_alu instid0(VALU_DEP_1) | instskip(SKIP_1) | instid1(VALU_DEP_1)
	s_cmp_lg_u32 s2, 0
	s_add_co_ci_u32 s2, s23, s25
	v_mul_hi_u32 v13, v5, v4
	s_wait_alu 0xfffe
	v_mad_co_u64_u32 v[7:8], null, v5, s2, 0
	v_mad_co_u64_u32 v[9:10], null, v6, v4, 0
	;; [unrolled: 1-line block ×3, first 2 shown]
	s_delay_alu instid0(VALU_DEP_3) | instskip(SKIP_1) | instid1(VALU_DEP_4)
	v_add_co_u32 v4, vcc_lo, v13, v7
	s_wait_alu 0xfffd
	v_add_co_ci_u32_e32 v7, vcc_lo, 0, v8, vcc_lo
	s_delay_alu instid0(VALU_DEP_2) | instskip(SKIP_1) | instid1(VALU_DEP_2)
	v_add_co_u32 v4, vcc_lo, v4, v9
	s_wait_alu 0xfffd
	v_add_co_ci_u32_e32 v4, vcc_lo, v7, v10, vcc_lo
	s_wait_alu 0xfffd
	v_add_co_ci_u32_e32 v7, vcc_lo, 0, v12, vcc_lo
	s_delay_alu instid0(VALU_DEP_2) | instskip(SKIP_1) | instid1(VALU_DEP_2)
	v_add_co_u32 v4, vcc_lo, v4, v11
	s_wait_alu 0xfffd
	v_add_co_ci_u32_e32 v9, vcc_lo, 0, v7, vcc_lo
	s_delay_alu instid0(VALU_DEP_2) | instskip(SKIP_1) | instid1(VALU_DEP_3)
	v_mul_lo_u32 v10, s19, v4
	v_mad_co_u64_u32 v[7:8], null, s18, v4, 0
	v_mul_lo_u32 v11, s18, v9
	s_delay_alu instid0(VALU_DEP_2) | instskip(NEXT) | instid1(VALU_DEP_2)
	v_sub_co_u32 v7, vcc_lo, v5, v7
	v_add3_u32 v8, v8, v11, v10
	s_delay_alu instid0(VALU_DEP_1) | instskip(SKIP_1) | instid1(VALU_DEP_1)
	v_sub_nc_u32_e32 v10, v6, v8
	s_wait_alu 0xfffd
	v_subrev_co_ci_u32_e64 v10, s2, s19, v10, vcc_lo
	v_add_co_u32 v11, s2, v4, 2
	s_wait_alu 0xf1ff
	v_add_co_ci_u32_e64 v12, s2, 0, v9, s2
	v_sub_co_u32 v13, s2, v7, s18
	v_sub_co_ci_u32_e32 v8, vcc_lo, v6, v8, vcc_lo
	s_wait_alu 0xf1ff
	v_subrev_co_ci_u32_e64 v10, s2, 0, v10, s2
	s_delay_alu instid0(VALU_DEP_3) | instskip(NEXT) | instid1(VALU_DEP_3)
	v_cmp_le_u32_e32 vcc_lo, s18, v13
	v_cmp_eq_u32_e64 s2, s19, v8
	s_wait_alu 0xfffd
	v_cndmask_b32_e64 v13, 0, -1, vcc_lo
	v_cmp_le_u32_e32 vcc_lo, s19, v10
	s_wait_alu 0xfffd
	v_cndmask_b32_e64 v14, 0, -1, vcc_lo
	v_cmp_le_u32_e32 vcc_lo, s18, v7
	;; [unrolled: 3-line block ×3, first 2 shown]
	s_wait_alu 0xfffd
	v_cndmask_b32_e64 v15, 0, -1, vcc_lo
	v_cmp_eq_u32_e32 vcc_lo, s19, v10
	s_wait_alu 0xf1ff
	s_delay_alu instid0(VALU_DEP_2)
	v_cndmask_b32_e64 v7, v15, v7, s2
	s_wait_alu 0xfffd
	v_cndmask_b32_e32 v10, v14, v13, vcc_lo
	v_add_co_u32 v13, vcc_lo, v4, 1
	s_wait_alu 0xfffd
	v_add_co_ci_u32_e32 v14, vcc_lo, 0, v9, vcc_lo
	s_delay_alu instid0(VALU_DEP_3) | instskip(SKIP_2) | instid1(VALU_DEP_3)
	v_cmp_ne_u32_e32 vcc_lo, 0, v10
	s_wait_alu 0xfffd
	v_cndmask_b32_e32 v10, v13, v11, vcc_lo
	v_cndmask_b32_e32 v8, v14, v12, vcc_lo
	v_cmp_ne_u32_e32 vcc_lo, 0, v7
	s_wait_alu 0xfffd
	s_delay_alu instid0(VALU_DEP_2)
	v_dual_cndmask_b32 v7, v4, v10 :: v_dual_cndmask_b32 v8, v9, v8
.LBB0_4:                                ;   in Loop: Header=BB0_2 Depth=1
	s_wait_alu 0xfffe
	s_and_not1_saveexec_b32 s2, s20
	s_cbranch_execz .LBB0_6
; %bb.5:                                ;   in Loop: Header=BB0_2 Depth=1
	v_cvt_f32_u32_e32 v4, s18
	s_sub_co_i32 s20, 0, s18
	s_delay_alu instid0(VALU_DEP_1) | instskip(NEXT) | instid1(TRANS32_DEP_1)
	v_rcp_iflag_f32_e32 v4, v4
	v_mul_f32_e32 v4, 0x4f7ffffe, v4
	s_delay_alu instid0(VALU_DEP_1) | instskip(SKIP_1) | instid1(VALU_DEP_1)
	v_cvt_u32_f32_e32 v4, v4
	s_wait_alu 0xfffe
	v_mul_lo_u32 v7, s20, v4
	s_delay_alu instid0(VALU_DEP_1) | instskip(NEXT) | instid1(VALU_DEP_1)
	v_mul_hi_u32 v7, v4, v7
	v_add_nc_u32_e32 v4, v4, v7
	s_delay_alu instid0(VALU_DEP_1) | instskip(NEXT) | instid1(VALU_DEP_1)
	v_mul_hi_u32 v4, v5, v4
	v_mul_lo_u32 v7, v4, s18
	v_add_nc_u32_e32 v8, 1, v4
	s_delay_alu instid0(VALU_DEP_2) | instskip(NEXT) | instid1(VALU_DEP_1)
	v_sub_nc_u32_e32 v7, v5, v7
	v_subrev_nc_u32_e32 v9, s18, v7
	v_cmp_le_u32_e32 vcc_lo, s18, v7
	s_wait_alu 0xfffd
	s_delay_alu instid0(VALU_DEP_2) | instskip(NEXT) | instid1(VALU_DEP_1)
	v_dual_cndmask_b32 v7, v7, v9 :: v_dual_cndmask_b32 v4, v4, v8
	v_cmp_le_u32_e32 vcc_lo, s18, v7
	s_delay_alu instid0(VALU_DEP_2) | instskip(SKIP_1) | instid1(VALU_DEP_1)
	v_add_nc_u32_e32 v8, 1, v4
	s_wait_alu 0xfffd
	v_dual_cndmask_b32 v7, v4, v8 :: v_dual_mov_b32 v8, v3
.LBB0_6:                                ;   in Loop: Header=BB0_2 Depth=1
	s_wait_alu 0xfffe
	s_or_b32 exec_lo, exec_lo, s2
	s_load_b64 s[20:21], s[12:13], 0x0
	s_delay_alu instid0(VALU_DEP_1)
	v_mul_lo_u32 v4, v8, s18
	v_mul_lo_u32 v11, v7, s19
	v_mad_co_u64_u32 v[9:10], null, v7, s18, 0
	s_add_nc_u64 s[14:15], s[14:15], 1
	s_add_nc_u64 s[12:13], s[12:13], 8
	s_wait_alu 0xfffe
	v_cmp_ge_u64_e64 s2, s[14:15], s[6:7]
	s_add_nc_u64 s[16:17], s[16:17], 8
	s_delay_alu instid0(VALU_DEP_2) | instskip(NEXT) | instid1(VALU_DEP_3)
	v_add3_u32 v4, v10, v11, v4
	v_sub_co_u32 v5, vcc_lo, v5, v9
	s_wait_alu 0xfffd
	s_delay_alu instid0(VALU_DEP_2) | instskip(SKIP_3) | instid1(VALU_DEP_2)
	v_sub_co_ci_u32_e32 v4, vcc_lo, v6, v4, vcc_lo
	s_and_b32 vcc_lo, exec_lo, s2
	s_wait_kmcnt 0x0
	v_mul_lo_u32 v6, s21, v5
	v_mul_lo_u32 v4, s20, v4
	v_mad_co_u64_u32 v[1:2], null, s20, v5, v[1:2]
	s_delay_alu instid0(VALU_DEP_1)
	v_add3_u32 v2, v6, v2, v4
	s_wait_alu 0xfffe
	s_cbranch_vccnz .LBB0_9
; %bb.7:                                ;   in Loop: Header=BB0_2 Depth=1
	v_dual_mov_b32 v5, v7 :: v_dual_mov_b32 v6, v8
	s_branch .LBB0_2
.LBB0_8:
	v_dual_mov_b32 v8, v6 :: v_dual_mov_b32 v7, v5
.LBB0_9:
	s_lshl_b64 s[2:3], s[6:7], 3
	v_mul_hi_u32 v5, 0x1681682, v0
	s_wait_alu 0xfffe
	s_add_nc_u64 s[2:3], s[10:11], s[2:3]
	s_load_b64 s[2:3], s[2:3], 0x0
	s_load_b64 s[0:1], s[0:1], 0x20
	s_wait_kmcnt 0x0
	v_mul_lo_u32 v3, s2, v8
	v_mul_lo_u32 v4, s3, v7
	v_mad_co_u64_u32 v[1:2], null, s2, v7, v[1:2]
	v_cmp_gt_u64_e32 vcc_lo, s[0:1], v[7:8]
	s_delay_alu instid0(VALU_DEP_2) | instskip(SKIP_1) | instid1(VALU_DEP_2)
	v_add3_u32 v2, v4, v2, v3
	v_mul_u32_u24_e32 v3, 0xb6, v5
	v_lshlrev_b64_e32 v[1:2], 4, v[1:2]
	s_delay_alu instid0(VALU_DEP_2)
	v_sub_nc_u32_e32 v76, v0, v3
	scratch_store_b64 off, v[1:2], off      ; 8-byte Folded Spill
	s_and_saveexec_b32 s1, vcc_lo
	s_cbranch_execz .LBB0_13
; %bb.10:
	scratch_load_b64 v[0:1], off, off       ; 8-byte Folded Reload
	v_mov_b32_e32 v77, 0
	v_lshl_add_u32 v46, v76, 4, 0
	s_mov_b32 s2, exec_lo
	s_delay_alu instid0(VALU_DEP_2) | instskip(SKIP_4) | instid1(VALU_DEP_2)
	v_lshlrev_b64_e32 v[2:3], 4, v[76:77]
	s_wait_loadcnt 0x0
	v_add_co_u32 v0, s0, s8, v0
	s_wait_alu 0xf1ff
	v_add_co_ci_u32_e64 v1, s0, s9, v1, s0
	v_add_co_u32 v42, s0, v0, v2
	s_wait_alu 0xf1ff
	s_delay_alu instid0(VALU_DEP_2)
	v_add_co_ci_u32_e64 v43, s0, v1, v3, s0
	s_clause 0xa
	global_load_b128 v[2:5], v[42:43], off
	global_load_b128 v[6:9], v[42:43], off offset:2912
	global_load_b128 v[10:13], v[42:43], off offset:5824
	global_load_b128 v[14:17], v[42:43], off offset:8736
	global_load_b128 v[18:21], v[42:43], off offset:11648
	global_load_b128 v[22:25], v[42:43], off offset:14560
	global_load_b128 v[26:29], v[42:43], off offset:17472
	global_load_b128 v[30:33], v[42:43], off offset:20384
	global_load_b128 v[34:37], v[42:43], off offset:23296
	global_load_b128 v[38:41], v[42:43], off offset:26208
	global_load_b128 v[42:45], v[42:43], off offset:29120
	s_wait_loadcnt 0xa
	ds_store_b128 v46, v[2:5]
	s_wait_loadcnt 0x9
	ds_store_b128 v46, v[6:9] offset:2912
	s_wait_loadcnt 0x8
	ds_store_b128 v46, v[10:13] offset:5824
	;; [unrolled: 2-line block ×10, first 2 shown]
	v_cmpx_eq_u32_e32 0xb5, v76
	s_cbranch_execz .LBB0_12
; %bb.11:
	global_load_b128 v[0:3], v[0:1], off offset:32032
	v_mov_b32_e32 v76, 0xb5
	s_wait_loadcnt 0x0
	ds_store_b128 v77, v[0:3] offset:32032
.LBB0_12:
	s_wait_alu 0xfffe
	s_or_b32 exec_lo, exec_lo, s2
.LBB0_13:
	s_wait_alu 0xfffe
	s_or_b32 exec_lo, exec_lo, s1
	v_lshlrev_b32_e32 v0, 4, v76
	global_wb scope:SCOPE_SE
	s_wait_storecnt_dscnt 0x0
	s_barrier_signal -1
	s_barrier_wait -1
	global_inv scope:SCOPE_SE
	v_add_nc_u32_e32 v248, 0, v0
	v_sub_nc_u32_e32 v10, 0, v0
	s_mov_b32 s1, exec_lo
                                        ; implicit-def: $vgpr4_vgpr5
	ds_load_b64 v[6:7], v248
	ds_load_b64 v[8:9], v10 offset:32032
	s_wait_dscnt 0x0
	v_add_f64_e32 v[0:1], v[6:7], v[8:9]
	v_add_f64_e64 v[2:3], v[6:7], -v[8:9]
	v_cmpx_ne_u32_e32 0, v76
	s_wait_alu 0xfffe
	s_xor_b32 s1, exec_lo, s1
	s_cbranch_execz .LBB0_15
; %bb.14:
	v_mov_b32_e32 v77, 0
	v_add_f64_e32 v[13:14], v[6:7], v[8:9]
	v_add_f64_e64 v[15:16], v[6:7], -v[8:9]
	s_delay_alu instid0(VALU_DEP_3) | instskip(NEXT) | instid1(VALU_DEP_1)
	v_lshlrev_b64_e32 v[0:1], 4, v[76:77]
	v_add_co_u32 v0, s0, s4, v0
	s_wait_alu 0xf1ff
	s_delay_alu instid0(VALU_DEP_2)
	v_add_co_ci_u32_e64 v1, s0, s5, v1, s0
	global_load_b128 v[2:5], v[0:1], off offset:32000
	ds_load_b64 v[0:1], v10 offset:32040
	ds_load_b64 v[11:12], v248 offset:8
	s_wait_dscnt 0x0
	v_add_f64_e32 v[6:7], v[0:1], v[11:12]
	v_add_f64_e64 v[0:1], v[11:12], -v[0:1]
	s_wait_loadcnt 0x0
	v_fma_f64 v[8:9], v[15:16], v[4:5], v[13:14]
	v_fma_f64 v[11:12], -v[15:16], v[4:5], v[13:14]
	s_delay_alu instid0(VALU_DEP_3) | instskip(SKIP_1) | instid1(VALU_DEP_4)
	v_fma_f64 v[13:14], v[6:7], v[4:5], -v[0:1]
	v_fma_f64 v[4:5], v[6:7], v[4:5], v[0:1]
	v_fma_f64 v[0:1], -v[6:7], v[2:3], v[8:9]
	s_delay_alu instid0(VALU_DEP_4) | instskip(NEXT) | instid1(VALU_DEP_4)
	v_fma_f64 v[6:7], v[6:7], v[2:3], v[11:12]
	v_fma_f64 v[8:9], v[15:16], v[2:3], v[13:14]
	s_delay_alu instid0(VALU_DEP_4)
	v_fma_f64 v[2:3], v[15:16], v[2:3], v[4:5]
	v_dual_mov_b32 v4, v76 :: v_dual_mov_b32 v5, v77
	ds_store_b128 v10, v[6:9] offset:32032
.LBB0_15:
	s_wait_alu 0xfffe
	s_and_not1_saveexec_b32 s0, s1
	s_cbranch_execz .LBB0_17
; %bb.16:
	v_mov_b32_e32 v8, 0
	ds_load_b128 v[4:7], v8 offset:16016
	s_wait_dscnt 0x0
	v_add_f64_e32 v[11:12], v[4:5], v[4:5]
	v_mul_f64_e32 v[13:14], -2.0, v[6:7]
	v_mov_b32_e32 v4, 0
	v_mov_b32_e32 v5, 0
	ds_store_b128 v8, v[11:14] offset:16016
.LBB0_17:
	s_wait_alu 0xfffe
	s_or_b32 exec_lo, exec_lo, s0
	v_lshlrev_b64_e32 v[4:5], 4, v[4:5]
	s_add_nc_u64 s[0:1], s[4:5], 0x7d00
	s_wait_alu 0xfffe
	s_delay_alu instid0(VALU_DEP_1) | instskip(SKIP_1) | instid1(VALU_DEP_2)
	v_add_co_u32 v4, s0, s0, v4
	s_wait_alu 0xf1ff
	v_add_co_ci_u32_e64 v5, s0, s1, v5, s0
	v_cmp_gt_u32_e64 s0, 0x5b, v76
	s_clause 0x1
	global_load_b128 v[6:9], v[4:5], off offset:2912
	global_load_b128 v[11:14], v[4:5], off offset:5824
	ds_store_b128 v248, v[0:3]
	ds_load_b128 v[0:3], v248 offset:2912
	ds_load_b128 v[15:18], v10 offset:29120
	global_load_b128 v[19:22], v[4:5], off offset:8736
	s_wait_dscnt 0x0
	v_add_f64_e32 v[23:24], v[0:1], v[15:16]
	v_add_f64_e32 v[25:26], v[17:18], v[2:3]
	v_add_f64_e64 v[27:28], v[0:1], -v[15:16]
	v_add_f64_e64 v[0:1], v[2:3], -v[17:18]
	s_wait_loadcnt 0x2
	s_delay_alu instid0(VALU_DEP_2) | instskip(NEXT) | instid1(VALU_DEP_2)
	v_fma_f64 v[2:3], v[27:28], v[8:9], v[23:24]
	v_fma_f64 v[15:16], v[25:26], v[8:9], v[0:1]
	v_fma_f64 v[17:18], -v[27:28], v[8:9], v[23:24]
	v_fma_f64 v[8:9], v[25:26], v[8:9], -v[0:1]
	s_delay_alu instid0(VALU_DEP_4) | instskip(NEXT) | instid1(VALU_DEP_4)
	v_fma_f64 v[0:1], -v[25:26], v[6:7], v[2:3]
	v_fma_f64 v[2:3], v[27:28], v[6:7], v[15:16]
	s_delay_alu instid0(VALU_DEP_4) | instskip(NEXT) | instid1(VALU_DEP_4)
	v_fma_f64 v[15:16], v[25:26], v[6:7], v[17:18]
	v_fma_f64 v[17:18], v[27:28], v[6:7], v[8:9]
	ds_store_b128 v248, v[0:3] offset:2912
	ds_store_b128 v10, v[15:18] offset:29120
	ds_load_b128 v[0:3], v248 offset:5824
	ds_load_b128 v[6:9], v10 offset:26208
	global_load_b128 v[15:18], v[4:5], off offset:11648
	s_wait_dscnt 0x0
	v_add_f64_e32 v[23:24], v[0:1], v[6:7]
	v_add_f64_e32 v[25:26], v[8:9], v[2:3]
	v_add_f64_e64 v[27:28], v[0:1], -v[6:7]
	v_add_f64_e64 v[0:1], v[2:3], -v[8:9]
	s_wait_loadcnt 0x2
	s_delay_alu instid0(VALU_DEP_2) | instskip(NEXT) | instid1(VALU_DEP_2)
	v_fma_f64 v[2:3], v[27:28], v[13:14], v[23:24]
	v_fma_f64 v[6:7], v[25:26], v[13:14], v[0:1]
	v_fma_f64 v[8:9], -v[27:28], v[13:14], v[23:24]
	v_fma_f64 v[13:14], v[25:26], v[13:14], -v[0:1]
	s_delay_alu instid0(VALU_DEP_4) | instskip(NEXT) | instid1(VALU_DEP_4)
	v_fma_f64 v[0:1], -v[25:26], v[11:12], v[2:3]
	v_fma_f64 v[2:3], v[27:28], v[11:12], v[6:7]
	s_delay_alu instid0(VALU_DEP_4) | instskip(NEXT) | instid1(VALU_DEP_4)
	v_fma_f64 v[6:7], v[25:26], v[11:12], v[8:9]
	v_fma_f64 v[8:9], v[27:28], v[11:12], v[13:14]
	ds_store_b128 v248, v[0:3] offset:5824
	ds_store_b128 v10, v[6:9] offset:26208
	ds_load_b128 v[0:3], v248 offset:8736
	ds_load_b128 v[6:9], v10 offset:23296
	s_wait_dscnt 0x0
	v_add_f64_e32 v[11:12], v[0:1], v[6:7]
	v_add_f64_e32 v[13:14], v[8:9], v[2:3]
	v_add_f64_e64 v[23:24], v[0:1], -v[6:7]
	v_add_f64_e64 v[0:1], v[2:3], -v[8:9]
	s_wait_loadcnt 0x1
	s_delay_alu instid0(VALU_DEP_2) | instskip(NEXT) | instid1(VALU_DEP_2)
	v_fma_f64 v[2:3], v[23:24], v[21:22], v[11:12]
	v_fma_f64 v[6:7], v[13:14], v[21:22], v[0:1]
	v_fma_f64 v[8:9], -v[23:24], v[21:22], v[11:12]
	v_fma_f64 v[11:12], v[13:14], v[21:22], -v[0:1]
	s_delay_alu instid0(VALU_DEP_4) | instskip(NEXT) | instid1(VALU_DEP_4)
	v_fma_f64 v[0:1], -v[13:14], v[19:20], v[2:3]
	v_fma_f64 v[2:3], v[23:24], v[19:20], v[6:7]
	s_delay_alu instid0(VALU_DEP_4) | instskip(NEXT) | instid1(VALU_DEP_4)
	v_fma_f64 v[6:7], v[13:14], v[19:20], v[8:9]
	v_fma_f64 v[8:9], v[23:24], v[19:20], v[11:12]
	ds_store_b128 v248, v[0:3] offset:8736
	ds_store_b128 v10, v[6:9] offset:23296
	ds_load_b128 v[0:3], v248 offset:11648
	ds_load_b128 v[6:9], v10 offset:20384
	s_wait_dscnt 0x0
	v_add_f64_e32 v[11:12], v[0:1], v[6:7]
	v_add_f64_e32 v[13:14], v[8:9], v[2:3]
	v_add_f64_e64 v[19:20], v[0:1], -v[6:7]
	v_add_f64_e64 v[0:1], v[2:3], -v[8:9]
	s_wait_loadcnt 0x0
	s_delay_alu instid0(VALU_DEP_2) | instskip(NEXT) | instid1(VALU_DEP_2)
	v_fma_f64 v[2:3], v[19:20], v[17:18], v[11:12]
	v_fma_f64 v[6:7], v[13:14], v[17:18], v[0:1]
	v_fma_f64 v[8:9], -v[19:20], v[17:18], v[11:12]
	v_fma_f64 v[11:12], v[13:14], v[17:18], -v[0:1]
	s_delay_alu instid0(VALU_DEP_4) | instskip(NEXT) | instid1(VALU_DEP_4)
	v_fma_f64 v[0:1], -v[13:14], v[15:16], v[2:3]
	v_fma_f64 v[2:3], v[19:20], v[15:16], v[6:7]
	s_delay_alu instid0(VALU_DEP_4) | instskip(NEXT) | instid1(VALU_DEP_4)
	v_fma_f64 v[6:7], v[13:14], v[15:16], v[8:9]
	v_fma_f64 v[8:9], v[19:20], v[15:16], v[11:12]
	ds_store_b128 v248, v[0:3] offset:11648
	ds_store_b128 v10, v[6:9] offset:20384
	s_and_saveexec_b32 s1, s0
	s_cbranch_execz .LBB0_19
; %bb.18:
	global_load_b128 v[0:3], v[4:5], off offset:14560
	ds_load_b128 v[4:7], v248 offset:14560
	ds_load_b128 v[11:14], v10 offset:17472
	s_wait_dscnt 0x0
	v_add_f64_e32 v[8:9], v[4:5], v[11:12]
	v_add_f64_e32 v[15:16], v[13:14], v[6:7]
	v_add_f64_e64 v[11:12], v[4:5], -v[11:12]
	v_add_f64_e64 v[4:5], v[6:7], -v[13:14]
	s_wait_loadcnt 0x0
	s_delay_alu instid0(VALU_DEP_2) | instskip(NEXT) | instid1(VALU_DEP_2)
	v_fma_f64 v[6:7], v[11:12], v[2:3], v[8:9]
	v_fma_f64 v[13:14], v[15:16], v[2:3], v[4:5]
	v_fma_f64 v[8:9], -v[11:12], v[2:3], v[8:9]
	v_fma_f64 v[17:18], v[15:16], v[2:3], -v[4:5]
	s_delay_alu instid0(VALU_DEP_4) | instskip(NEXT) | instid1(VALU_DEP_4)
	v_fma_f64 v[2:3], -v[15:16], v[0:1], v[6:7]
	v_fma_f64 v[4:5], v[11:12], v[0:1], v[13:14]
	s_delay_alu instid0(VALU_DEP_4) | instskip(NEXT) | instid1(VALU_DEP_4)
	v_fma_f64 v[6:7], v[15:16], v[0:1], v[8:9]
	v_fma_f64 v[8:9], v[11:12], v[0:1], v[17:18]
	ds_store_b128 v248, v[2:5] offset:14560
	ds_store_b128 v10, v[6:9] offset:17472
.LBB0_19:
	s_wait_alu 0xfffe
	s_or_b32 exec_lo, exec_lo, s1
	global_wb scope:SCOPE_SE
	s_wait_dscnt 0x0
	s_barrier_signal -1
	s_barrier_wait -1
	global_inv scope:SCOPE_SE
	global_wb scope:SCOPE_SE
	s_barrier_signal -1
	s_barrier_wait -1
	global_inv scope:SCOPE_SE
	ds_load_b128 v[0:3], v248 offset:16016
	ds_load_b128 v[8:11], v248
	ds_load_b128 v[16:19], v248 offset:2912
	ds_load_b128 v[4:7], v248 offset:18928
	;; [unrolled: 1-line block ×10, first 2 shown]
	v_add_nc_u32_e32 v77, 0xb6, v76
	global_wb scope:SCOPE_SE
	s_wait_dscnt 0x0
	s_barrier_signal -1
	s_barrier_wait -1
	global_inv scope:SCOPE_SE
	v_add_f64_e64 v[44:45], v[8:9], -v[0:1]
	v_add_f64_e64 v[46:47], v[10:11], -v[2:3]
	;; [unrolled: 1-line block ×12, first 2 shown]
	v_lshl_add_u32 v37, v76, 4, v248
	v_lshl_add_u32 v36, v76, 5, 0
	;; [unrolled: 1-line block ×3, first 2 shown]
	v_fma_f64 v[0:1], v[8:9], 2.0, -v[44:45]
	v_fma_f64 v[2:3], v[10:11], 2.0, -v[46:47]
	v_fma_f64 v[48:49], v[16:17], 2.0, -v[28:29]
	v_fma_f64 v[50:51], v[18:19], 2.0, -v[30:31]
	v_fma_f64 v[20:21], v[20:21], 2.0, -v[12:13]
	v_fma_f64 v[22:23], v[22:23], 2.0, -v[14:15]
	v_fma_f64 v[8:9], v[32:33], 2.0, -v[4:5]
	v_fma_f64 v[10:11], v[34:35], 2.0, -v[6:7]
	v_fma_f64 v[16:17], v[40:41], 2.0, -v[24:25]
	v_fma_f64 v[18:19], v[42:43], 2.0, -v[26:27]
	v_fma_f64 v[32:33], v[52:53], 2.0, -v[68:69]
	v_fma_f64 v[34:35], v[54:55], 2.0, -v[70:71]
	ds_store_b128 v37, v[0:3]
	ds_store_b128 v37, v[44:47] offset:16
	ds_store_b128 v38, v[48:51]
	ds_store_b128 v38, v[28:31] offset:16
	ds_store_b128 v36, v[20:23] offset:11648
	;; [unrolled: 1-line block ×7, first 2 shown]
	s_and_saveexec_b32 s1, s0
	s_cbranch_execz .LBB0_21
; %bb.20:
	ds_store_b128 v36, v[32:35] offset:29120
	ds_store_b128 v36, v[68:71] offset:29136
.LBB0_21:
	s_wait_alu 0xfffe
	s_or_b32 exec_lo, exec_lo, s1
	v_cmp_gt_u32_e64 s0, 0x9a, v76
	global_wb scope:SCOPE_SE
	s_wait_dscnt 0x0
	s_barrier_signal -1
	s_barrier_wait -1
	global_inv scope:SCOPE_SE
                                        ; implicit-def: $vgpr74_vgpr75
	s_and_saveexec_b32 s1, s0
	s_cbranch_execz .LBB0_23
; %bb.22:
	ds_load_b128 v[0:3], v248
	ds_load_b128 v[44:47], v248 offset:2464
	ds_load_b128 v[48:51], v248 offset:4928
	ds_load_b128 v[28:31], v248 offset:7392
	ds_load_b128 v[20:23], v248 offset:9856
	ds_load_b128 v[12:15], v248 offset:12320
	ds_load_b128 v[8:11], v248 offset:14784
	ds_load_b128 v[4:7], v248 offset:17248
	ds_load_b128 v[16:19], v248 offset:19712
	ds_load_b128 v[24:27], v248 offset:22176
	ds_load_b128 v[32:35], v248 offset:24640
	ds_load_b128 v[68:71], v248 offset:27104
	ds_load_b128 v[72:75], v248 offset:29568
.LBB0_23:
	s_wait_alu 0xfffe
	s_or_b32 exec_lo, exec_lo, s1
	v_and_b32_e32 v249, 1, v76
	s_mov_b32 s12, 0x4267c47c
	s_mov_b32 s2, 0xe00740e9
	s_mov_b32 s10, 0x42a4c3d2
	s_mov_b32 s6, 0x1ea71119
	v_mul_u32_u24_e32 v36, 12, v249
	s_mov_b32 s13, 0xbfddbe06
	s_mov_b32 s3, 0x3fec55a7
	;; [unrolled: 1-line block ×4, first 2 shown]
	v_lshlrev_b32_e32 v36, 4, v36
	s_mov_b32 s20, 0x66966769
	s_mov_b32 s14, 0xebaa3ed8
	;; [unrolled: 1-line block ×4, first 2 shown]
	s_clause 0xb
	global_load_b128 v[82:85], v36, s[4:5]
	global_load_b128 v[86:89], v36, s[4:5] offset:176
	global_load_b128 v[90:93], v36, s[4:5] offset:16
	;; [unrolled: 1-line block ×11, first 2 shown]
	s_mov_b32 s21, 0xbfefc445
	s_mov_b32 s15, 0x3fbedb7d
	;; [unrolled: 1-line block ×15, first 2 shown]
	s_wait_alu 0xfffe
	s_mov_b32 s34, s18
	s_mov_b32 s39, 0x3fddbe06
	;; [unrolled: 1-line block ×9, first 2 shown]
	s_wait_loadcnt_dscnt 0xb0b
	v_mul_f64_e32 v[80:81], v[44:45], v[84:85]
	s_wait_loadcnt_dscnt 0xa00
	v_mul_f64_e32 v[106:107], v[72:73], v[88:89]
	v_mul_f64_e32 v[84:85], v[46:47], v[84:85]
	s_wait_loadcnt 0x9
	v_mul_f64_e32 v[108:109], v[48:49], v[92:93]
	v_mul_f64_e32 v[88:89], v[74:75], v[88:89]
	s_wait_loadcnt 0x8
	v_mul_f64_e32 v[110:111], v[68:69], v[96:97]
	v_mul_f64_e32 v[92:93], v[50:51], v[92:93]
	;; [unrolled: 1-line block ×3, first 2 shown]
	s_wait_loadcnt 0x6
	v_mul_f64_e32 v[112:113], v[32:33], v[104:105]
	s_wait_loadcnt 0x5
	v_mul_f64_e32 v[114:115], v[20:21], v[66:67]
	v_mul_f64_e32 v[104:105], v[34:35], v[104:105]
	s_wait_loadcnt 0x4
	v_mul_f64_e32 v[116:117], v[24:25], v[62:63]
	s_wait_loadcnt 0x3
	;; [unrolled: 2-line block ×3, first 2 shown]
	v_mul_f64_e32 v[122:123], v[16:17], v[54:55]
	v_mul_f64_e32 v[126:127], v[26:27], v[62:63]
	;; [unrolled: 1-line block ×3, first 2 shown]
	s_wait_loadcnt 0x1
	v_mul_f64_e32 v[134:135], v[8:9], v[42:43]
	s_wait_loadcnt 0x0
	v_mul_f64_e32 v[136:137], v[4:5], v[38:39]
	v_mul_f64_e32 v[140:141], v[18:19], v[54:55]
	;; [unrolled: 1-line block ×4, first 2 shown]
	v_fma_f64 v[80:81], v[46:47], v[82:83], -v[80:81]
	v_fma_f64 v[46:47], v[74:75], v[86:87], -v[106:107]
	v_mul_f64_e32 v[106:107], v[28:29], v[100:101]
	v_fma_f64 v[74:75], v[44:45], v[82:83], v[84:85]
	v_fma_f64 v[82:83], v[50:51], v[90:91], -v[108:109]
	v_fma_f64 v[44:45], v[72:73], v[86:87], v[88:89]
	v_fma_f64 v[50:51], v[70:71], v[94:95], -v[110:111]
	v_mul_f64_e32 v[100:101], v[30:31], v[100:101]
	v_fma_f64 v[72:73], v[48:49], v[90:91], v[92:93]
	v_fma_f64 v[34:35], v[34:35], v[102:103], -v[112:113]
	v_mul_f64_e32 v[112:113], v[22:23], v[66:67]
	v_fma_f64 v[138:139], v[14:15], v[56:57], -v[118:119]
	v_fma_f64 v[58:59], v[18:19], v[52:53], -v[122:123]
	v_fma_f64 v[54:55], v[24:25], v[60:61], v[126:127]
	v_fma_f64 v[150:151], v[12:13], v[56:57], v[132:133]
	v_fma_f64 v[144:145], v[10:11], v[40:41], -v[134:135]
	v_fma_f64 v[52:53], v[16:17], v[52:53], v[140:141]
	v_fma_f64 v[140:141], v[6:7], v[36:37], -v[136:137]
	v_fma_f64 v[220:221], v[8:9], v[40:41], v[162:163]
	v_fma_f64 v[196:197], v[4:5], v[36:37], v[164:165]
	v_add_f64_e64 v[110:111], v[80:81], -v[46:47]
	v_add_f64_e32 v[108:109], v[80:81], v[46:47]
	v_fma_f64 v[84:85], v[30:31], v[98:99], -v[106:107]
	v_fma_f64 v[30:31], v[68:69], v[94:95], v[96:97]
	v_add_f64_e32 v[70:71], v[74:75], v[44:45]
	v_add_f64_e64 v[124:125], v[82:83], -v[50:51]
	v_add_f64_e64 v[86:87], v[74:75], -v[44:45]
	v_add_f64_e32 v[120:121], v[82:83], v[50:51]
	v_fma_f64 v[92:93], v[28:29], v[98:99], v[100:101]
	v_fma_f64 v[94:95], v[22:23], v[64:65], -v[114:115]
	v_fma_f64 v[28:29], v[32:33], v[102:103], v[104:105]
	v_fma_f64 v[32:33], v[26:27], v[60:61], -v[116:117]
	v_fma_f64 v[142:143], v[20:21], v[64:65], v[112:113]
	v_add_f64_e64 v[6:7], v[138:139], -v[58:59]
	v_add_f64_e32 v[252:253], v[138:139], v[58:59]
	v_add_f64_e32 v[172:173], v[150:151], v[52:53]
	v_add_f64_e64 v[174:175], v[150:151], -v[52:53]
	v_add_f64_e64 v[4:5], v[144:145], -v[140:141]
	v_add_f64_e32 v[254:255], v[144:145], v[140:141]
	v_mul_f64_e32 v[48:49], s[12:13], v[110:111]
	v_mul_f64_e32 v[68:69], s[2:3], v[108:109]
	;; [unrolled: 1-line block ×4, first 2 shown]
	v_add_f64_e64 v[22:23], v[84:85], -v[34:35]
	v_add_f64_e32 v[232:233], v[84:85], v[34:35]
	v_add_f64_e32 v[96:97], v[72:73], v[30:31]
	v_add_f64_e64 v[98:99], v[72:73], -v[30:31]
	v_mul_f64_e32 v[62:63], s[10:11], v[124:125]
	v_mul_f64_e32 v[66:67], s[6:7], v[120:121]
	;; [unrolled: 1-line block ×6, first 2 shown]
	v_add_f64_e32 v[116:117], v[92:93], v[28:29]
	v_add_f64_e64 v[118:119], v[92:93], -v[28:29]
	v_add_f64_e64 v[234:235], v[94:95], -v[32:33]
	v_add_f64_e32 v[250:251], v[94:95], v[32:33]
	v_mul_f64_e32 v[122:123], s[24:25], v[124:125]
	v_mul_f64_e32 v[126:127], s[22:23], v[120:121]
	;; [unrolled: 1-line block ×4, first 2 shown]
	v_add_f64_e32 v[134:135], v[142:143], v[54:55]
	v_add_f64_e64 v[136:137], v[142:143], -v[54:55]
	v_mul_f64_e32 v[204:205], s[28:29], v[110:111]
	v_mul_f64_e32 v[226:227], s[26:27], v[108:109]
	;; [unrolled: 1-line block ×10, first 2 shown]
	v_fma_f64 v[26:27], v[70:71], s[2:3], -v[48:49]
	v_fma_f64 v[114:115], v[86:87], s[12:13], v[68:69]
	v_fma_f64 v[128:129], v[70:71], s[6:7], -v[88:89]
	v_fma_f64 v[130:131], v[86:87], s[10:11], v[90:91]
	v_mul_f64_e32 v[60:61], s[20:21], v[22:23]
	v_mul_f64_e32 v[64:65], s[14:15], v[232:233]
	;; [unrolled: 1-line block ×4, first 2 shown]
	v_fma_f64 v[14:15], v[96:97], s[6:7], -v[62:63]
	v_fma_f64 v[20:21], v[98:99], s[10:11], v[66:67]
	v_mul_f64_e32 v[190:191], s[38:39], v[22:23]
	v_fma_f64 v[152:153], v[86:87], s[20:21], v[106:107]
	v_fma_f64 v[154:155], v[96:97], s[16:17], -v[100:101]
	v_fma_f64 v[158:159], v[98:99], s[18:19], v[102:103]
	v_mul_f64_e32 v[192:193], s[2:3], v[232:233]
	v_mul_f64_e32 v[218:219], s[10:11], v[22:23]
	;; [unrolled: 1-line block ×7, first 2 shown]
	v_fma_f64 v[178:179], v[86:87], s[18:19], v[148:149]
	v_mul_f64_e32 v[188:189], s[20:21], v[234:235]
	v_mul_f64_e32 v[222:223], s[6:7], v[232:233]
	v_fma_f64 v[186:187], v[70:71], s[26:27], -v[204:205]
	v_fma_f64 v[194:195], v[86:87], s[28:29], v[226:227]
	v_fma_f64 v[200:201], v[96:97], s[26:27], -v[198:199]
	v_fma_f64 v[208:209], v[98:99], s[30:31], v[202:203]
	v_fma_f64 v[212:213], v[172:173], s[26:27], -v[36:37]
	scratch_store_b64 off, v[48:49], off offset:8 ; 8-byte Folded Spill
	v_fma_f64 v[236:237], v[96:97], s[14:15], -v[228:229]
	v_fma_f64 v[240:241], v[98:99], s[36:37], v[230:231]
	v_mul_f64_e32 v[214:215], s[42:43], v[234:235]
	global_wb scope:SCOPE_SE
	s_wait_storecnt 0x0
	s_barrier_signal -1
	s_barrier_wait -1
	global_inv scope:SCOPE_SE
	v_add_f64_e32 v[18:19], v[0:1], v[26:27]
	v_add_f64_e32 v[24:25], v[2:3], v[114:115]
	v_fma_f64 v[26:27], v[70:71], s[14:15], -v[104:105]
	v_mul_f64_e32 v[114:115], s[22:23], v[232:233]
	v_add_f64_e32 v[156:157], v[0:1], v[128:129]
	v_add_f64_e32 v[160:161], v[2:3], v[130:131]
	v_mul_f64_e32 v[130:131], s[34:35], v[22:23]
	v_mul_f64_e32 v[128:129], s[26:27], v[250:251]
	v_fma_f64 v[10:11], v[116:117], s[14:15], -v[60:61]
	v_fma_f64 v[168:169], v[116:117], s[22:23], -v[112:113]
	;; [unrolled: 1-line block ×3, first 2 shown]
	v_fma_f64 v[244:245], v[118:119], s[38:39], v[192:193]
	v_fma_f64 v[8:9], v[134:135], s[16:17], -v[38:39]
	v_add_f64_e32 v[210:211], v[2:3], v[178:179]
	v_add_f64_e64 v[178:179], v[220:221], -v[196:197]
	v_fma_f64 v[48:49], v[118:119], s[10:11], v[222:223]
	v_add_f64_e32 v[238:239], v[0:1], v[186:187]
	v_add_f64_e32 v[194:195], v[2:3], v[194:195]
	v_mul_f64_e32 v[186:187], s[22:23], v[252:253]
	v_add_f64_e32 v[12:13], v[14:15], v[18:19]
	v_fma_f64 v[14:15], v[118:119], s[20:21], v[64:65]
	v_add_f64_e32 v[16:17], v[20:21], v[24:25]
	v_fma_f64 v[18:19], v[96:97], s[22:23], -v[122:123]
	v_add_f64_e32 v[20:21], v[0:1], v[26:27]
	v_fma_f64 v[24:25], v[98:99], s[24:25], v[126:127]
	v_add_f64_e32 v[26:27], v[2:3], v[152:153]
	v_add_f64_e32 v[156:157], v[154:155], v[156:157]
	v_fma_f64 v[176:177], v[118:119], s[24:25], v[114:115]
	v_add_f64_e32 v[158:159], v[158:159], v[160:161]
	v_fma_f64 v[160:161], v[70:71], s[16:17], -v[146:147]
	v_mul_f64_e32 v[152:153], s[36:37], v[6:7]
	v_mul_f64_e32 v[154:155], s[14:15], v[252:253]
	v_fma_f64 v[182:183], v[136:137], s[30:31], v[128:129]
	v_add_f64_e32 v[208:209], v[208:209], v[210:211]
	v_add_f64_e32 v[236:237], v[236:237], v[238:239]
	v_fma_f64 v[238:239], v[116:117], s[6:7], -v[218:219]
	v_add_f64_e32 v[240:241], v[240:241], v[194:195]
	v_mul_f64_e32 v[194:195], s[40:41], v[4:5]
	v_add_f64_e32 v[10:11], v[10:11], v[12:13]
	v_fma_f64 v[12:13], v[136:137], s[18:19], v[42:43]
	v_add_f64_e32 v[14:15], v[14:15], v[16:17]
	v_fma_f64 v[16:17], v[116:117], s[16:17], -v[130:131]
	v_add_f64_e32 v[18:19], v[18:19], v[20:21]
	v_fma_f64 v[20:21], v[118:119], s[34:35], v[132:133]
	v_add_f64_e32 v[24:25], v[24:25], v[26:27]
	v_fma_f64 v[26:27], v[134:135], s[26:27], -v[56:57]
	v_add_f64_e32 v[180:181], v[168:169], v[156:157]
	v_add_f64_e32 v[184:185], v[176:177], v[158:159]
	;; [unrolled: 1-line block ×4, first 2 shown]
	v_mul_f64_e32 v[156:157], s[24:25], v[4:5]
	v_mul_f64_e32 v[158:159], s[22:23], v[254:255]
	;; [unrolled: 1-line block ×4, first 2 shown]
	v_fma_f64 v[216:217], v[174:175], s[36:37], v[154:155]
	v_add_f64_e32 v[208:209], v[244:245], v[208:209]
	v_add_f64_e32 v[48:49], v[48:49], v[240:241]
	v_fma_f64 v[240:241], v[174:175], s[42:43], v[186:187]
	v_add_f64_e32 v[8:9], v[8:9], v[10:11]
	v_fma_f64 v[10:11], v[174:175], s[28:29], v[40:41]
	v_add_f64_e32 v[12:13], v[12:13], v[14:15]
	v_fma_f64 v[14:15], v[134:135], s[2:3], -v[166:167]
	v_add_f64_e32 v[16:17], v[16:17], v[18:19]
	v_fma_f64 v[18:19], v[136:137], s[38:39], v[170:171]
	v_add_f64_e32 v[20:21], v[20:21], v[24:25]
	v_fma_f64 v[24:25], v[172:173], s[14:15], -v[152:153]
	v_add_f64_e32 v[26:27], v[26:27], v[180:181]
	v_add_f64_e32 v[224:225], v[182:183], v[184:185]
	;; [unrolled: 1-line block ×3, first 2 shown]
	v_mul_f64_e32 v[206:207], s[14:15], v[250:251]
	v_mul_f64_e32 v[180:181], s[28:29], v[4:5]
	;; [unrolled: 1-line block ×4, first 2 shown]
	v_fma_f64 v[210:211], v[176:177], s[22:23], -v[156:157]
	v_fma_f64 v[246:247], v[174:175], s[10:11], v[168:169]
	v_fma_f64 v[78:79], v[176:177], s[2:3], -v[160:161]
	v_add_f64_e32 v[8:9], v[212:213], v[8:9]
	v_fma_f64 v[212:213], v[178:179], s[24:25], v[158:159]
	v_add_f64_e32 v[10:11], v[10:11], v[12:13]
	v_fma_f64 v[12:13], v[172:173], s[6:7], -v[164:165]
	v_add_f64_e32 v[14:15], v[14:15], v[16:17]
	v_add_f64_e32 v[20:21], v[18:19], v[20:21]
	;; [unrolled: 1-line block ×3, first 2 shown]
	v_fma_f64 v[26:27], v[178:179], s[38:39], v[162:163]
	v_add_f64_e32 v[216:217], v[216:217], v[224:225]
	v_mul_f64_e32 v[224:225], s[22:23], v[250:251]
	v_add_f64_e32 v[200:201], v[242:243], v[200:201]
	v_fma_f64 v[242:243], v[134:135], s[14:15], -v[188:189]
	v_fma_f64 v[244:245], v[136:137], s[20:21], v[206:207]
	v_add_f64_e32 v[16:17], v[210:211], v[8:9]
	v_mul_f64_e32 v[210:211], s[38:39], v[6:7]
	v_add_f64_e32 v[18:19], v[212:213], v[10:11]
	v_fma_f64 v[212:213], v[178:179], s[28:29], v[182:183]
	v_add_f64_e32 v[12:13], v[12:13], v[14:15]
	v_fma_f64 v[14:15], v[176:177], s[26:27], -v[180:181]
	v_add_f64_e32 v[20:21], v[246:247], v[20:21]
	v_mul_f64_e32 v[246:247], s[22:23], v[108:109]
	v_add_f64_e32 v[8:9], v[78:79], v[24:25]
	v_fma_f64 v[24:25], v[134:135], s[22:23], -v[214:215]
	v_add_f64_e32 v[10:11], v[26:27], v[216:217]
	v_mul_f64_e32 v[216:217], s[2:3], v[252:253]
	v_add_f64_e32 v[26:27], v[238:239], v[236:237]
	v_fma_f64 v[78:79], v[136:137], s[42:43], v[224:225]
	v_fma_f64 v[236:237], v[172:173], s[22:23], -v[184:185]
	v_add_f64_e32 v[238:239], v[242:243], v[200:201]
	v_add_f64_e32 v[242:243], v[244:245], v[208:209]
	v_mul_f64_e32 v[200:201], s[6:7], v[254:255]
	v_mul_f64_e32 v[208:209], s[18:19], v[4:5]
	;; [unrolled: 1-line block ×3, first 2 shown]
	v_add_f64_e32 v[12:13], v[14:15], v[12:13]
	v_add_f64_e32 v[14:15], v[212:213], v[20:21]
	v_mul_f64_e32 v[212:213], s[16:17], v[254:255]
	v_add_f64_e32 v[20:21], v[24:25], v[26:27]
	v_fma_f64 v[24:25], v[172:173], s[2:3], -v[210:211]
	v_add_f64_e32 v[26:27], v[78:79], v[48:49]
	v_fma_f64 v[48:49], v[174:175], s[38:39], v[216:217]
	v_add_f64_e32 v[78:79], v[236:237], v[238:239]
	v_fma_f64 v[236:237], v[176:177], s[6:7], -v[194:195]
	v_add_f64_e32 v[238:239], v[240:241], v[242:243]
	v_fma_f64 v[242:243], v[178:179], s[40:41], v[200:201]
	v_mul_f64_e32 v[240:241], s[38:39], v[124:125]
	v_fma_f64 v[108:109], v[176:177], s[16:17], -v[208:209]
	v_mul_f64_e32 v[124:125], s[16:17], v[252:253]
	v_fma_f64 v[110:111], v[178:179], s[18:19], v[212:213]
	v_add_f64_e32 v[20:21], v[24:25], v[20:21]
	v_add_f64_e32 v[48:49], v[48:49], v[26:27]
	;; [unrolled: 1-line block ×3, first 2 shown]
	v_fma_f64 v[78:79], v[70:71], s[22:23], -v[244:245]
	v_add_f64_e32 v[26:27], v[242:243], v[238:239]
	v_mul_f64_e32 v[242:243], s[2:3], v[120:121]
	v_fma_f64 v[120:121], v[86:87], s[24:25], v[246:247]
	v_mul_f64_e32 v[236:237], s[28:29], v[22:23]
	v_mul_f64_e32 v[238:239], s[26:27], v[232:233]
	;; [unrolled: 1-line block ×4, first 2 shown]
	v_add_f64_e32 v[20:21], v[108:109], v[20:21]
	v_add_f64_e32 v[22:23], v[110:111], v[48:49]
	v_fma_f64 v[48:49], v[96:97], s[2:3], -v[240:241]
	v_add_f64_e32 v[78:79], v[0:1], v[78:79]
	v_fma_f64 v[108:109], v[98:99], s[38:39], v[242:243]
	v_add_f64_e32 v[110:111], v[2:3], v[120:121]
	v_mul_f64_e32 v[120:121], s[18:19], v[6:7]
	s_delay_alu instid0(VALU_DEP_4) | instskip(SKIP_1) | instid1(VALU_DEP_4)
	v_add_f64_e32 v[48:49], v[48:49], v[78:79]
	v_fma_f64 v[78:79], v[116:117], s[26:27], -v[236:237]
	v_add_f64_e32 v[108:109], v[108:109], v[110:111]
	v_fma_f64 v[110:111], v[118:119], s[28:29], v[238:239]
	s_delay_alu instid0(VALU_DEP_3) | instskip(SKIP_1) | instid1(VALU_DEP_3)
	v_add_f64_e32 v[6:7], v[78:79], v[48:49]
	v_fma_f64 v[48:49], v[134:135], s[6:7], -v[232:233]
	v_add_f64_e32 v[78:79], v[110:111], v[108:109]
	v_fma_f64 v[110:111], v[136:137], s[40:41], v[234:235]
	v_mul_f64_e32 v[108:109], s[36:37], v[4:5]
	s_delay_alu instid0(VALU_DEP_4) | instskip(SKIP_1) | instid1(VALU_DEP_4)
	v_add_f64_e32 v[4:5], v[48:49], v[6:7]
	v_fma_f64 v[6:7], v[172:173], s[16:17], -v[120:121]
	v_add_f64_e32 v[48:49], v[110:111], v[78:79]
	v_fma_f64 v[78:79], v[174:175], s[18:19], v[124:125]
	v_mul_f64_e32 v[110:111], s[14:15], v[254:255]
	s_delay_alu instid0(VALU_DEP_4) | instskip(SKIP_1) | instid1(VALU_DEP_4)
	v_add_f64_e32 v[4:5], v[6:7], v[4:5]
	v_fma_f64 v[6:7], v[176:177], s[14:15], -v[108:109]
	v_add_f64_e32 v[48:49], v[78:79], v[48:49]
	s_delay_alu instid0(VALU_DEP_4) | instskip(NEXT) | instid1(VALU_DEP_3)
	v_fma_f64 v[78:79], v[178:179], s[36:37], v[110:111]
	v_add_f64_e32 v[4:5], v[6:7], v[4:5]
	s_delay_alu instid0(VALU_DEP_2)
	v_add_f64_e32 v[6:7], v[78:79], v[48:49]
	s_and_saveexec_b32 s1, s0
	s_cbranch_execz .LBB0_25
; %bb.24:
	v_add_f64_e32 v[48:49], v[2:3], v[80:81]
	v_add_f64_e32 v[74:75], v[0:1], v[74:75]
	v_mul_f64_e32 v[80:81], s[28:29], v[86:87]
	v_mul_f64_e32 v[78:79], s[22:23], v[70:71]
	;; [unrolled: 1-line block ×3, first 2 shown]
	v_add_f64_e32 v[48:49], v[48:49], v[82:83]
	v_add_f64_e32 v[72:73], v[74:75], v[72:73]
	v_mul_f64_e32 v[74:75], s[24:25], v[86:87]
	v_mul_f64_e32 v[82:83], s[26:27], v[70:71]
	v_add_f64_e32 v[78:79], v[78:79], v[244:245]
	v_mul_f64_e32 v[244:245], s[2:3], v[96:97]
	v_add_f64_e64 v[80:81], v[226:227], -v[80:81]
	v_mul_f64_e32 v[226:227], s[36:37], v[98:99]
	v_add_f64_e64 v[114:115], v[114:115], -v[250:251]
	v_add_f64_e32 v[48:49], v[48:49], v[84:85]
	v_mul_f64_e32 v[84:85], s[18:19], v[86:87]
	v_add_f64_e32 v[72:73], v[72:73], v[92:93]
	v_mul_f64_e32 v[92:93], s[16:17], v[70:71]
	v_add_f64_e64 v[74:75], v[246:247], -v[74:75]
	v_mul_f64_e32 v[246:247], s[38:39], v[98:99]
	v_add_f64_e32 v[82:83], v[82:83], v[204:205]
	v_mul_f64_e32 v[204:205], s[14:15], v[96:97]
	v_add_f64_e32 v[240:241], v[244:245], v[240:241]
	v_mul_f64_e32 v[244:245], s[34:35], v[118:119]
	v_add_f64_e64 v[226:227], v[230:231], -v[226:227]
	v_mul_f64_e32 v[230:231], s[10:11], v[118:119]
	v_add_f64_e32 v[78:79], v[0:1], v[78:79]
	v_add_f64_e32 v[80:81], v[2:3], v[80:81]
	;; [unrolled: 1-line block ×3, first 2 shown]
	v_mul_f64_e32 v[94:95], s[20:21], v[86:87]
	v_add_f64_e32 v[72:73], v[72:73], v[142:143]
	v_mul_f64_e32 v[142:143], s[14:15], v[70:71]
	v_add_f64_e64 v[84:85], v[148:149], -v[84:85]
	v_mul_f64_e32 v[148:149], s[30:31], v[98:99]
	v_add_f64_e32 v[92:93], v[92:93], v[146:147]
	v_mul_f64_e32 v[146:147], s[26:27], v[96:97]
	v_add_f64_e64 v[242:243], v[242:243], -v[246:247]
	v_add_f64_e32 v[204:205], v[204:205], v[228:229]
	v_mul_f64_e32 v[228:229], s[28:29], v[118:119]
	v_add_f64_e32 v[74:75], v[2:3], v[74:75]
	v_mul_f64_e32 v[246:247], s[16:17], v[116:117]
	v_add_f64_e32 v[82:83], v[0:1], v[82:83]
	v_add_f64_e64 v[222:223], v[222:223], -v[230:231]
	v_add_f64_e64 v[132:133], v[132:133], -v[244:245]
	v_add_f64_e32 v[78:79], v[240:241], v[78:79]
	v_add_f64_e32 v[80:81], v[226:227], v[80:81]
	;; [unrolled: 1-line block ×3, first 2 shown]
	v_mul_f64_e32 v[138:139], s[10:11], v[86:87]
	v_mul_f64_e32 v[86:87], s[12:13], v[86:87]
	v_add_f64_e32 v[72:73], v[72:73], v[150:151]
	v_mul_f64_e32 v[150:151], s[6:7], v[70:71]
	v_mul_f64_e32 v[70:71], s[2:3], v[70:71]
	v_add_f64_e64 v[94:95], v[106:107], -v[94:95]
	v_mul_f64_e32 v[106:107], s[18:19], v[98:99]
	v_add_f64_e32 v[104:105], v[142:143], v[104:105]
	v_mul_f64_e32 v[142:143], s[24:25], v[98:99]
	v_mul_f64_e32 v[98:99], s[10:11], v[98:99]
	v_add_f64_e64 v[148:149], v[202:203], -v[148:149]
	v_mul_f64_e32 v[202:203], s[26:27], v[116:117]
	v_add_f64_e32 v[84:85], v[2:3], v[84:85]
	v_add_f64_e32 v[146:147], v[146:147], v[198:199]
	v_mul_f64_e32 v[198:199], s[6:7], v[116:117]
	v_add_f64_e32 v[92:93], v[0:1], v[92:93]
	v_add_f64_e64 v[228:229], v[238:239], -v[228:229]
	v_add_f64_e32 v[74:75], v[242:243], v[74:75]
	v_add_f64_e32 v[130:131], v[246:247], v[130:131]
	;; [unrolled: 1-line block ×4, first 2 shown]
	v_add_f64_e64 v[90:91], v[90:91], -v[138:139]
	v_add_f64_e64 v[68:69], v[68:69], -v[86:87]
	scratch_load_b64 v[86:87], off, off offset:8 th:TH_LOAD_LU ; 8-byte Folded Reload
	v_add_f64_e32 v[88:89], v[150:151], v[88:89]
	v_mul_f64_e32 v[150:151], s[16:17], v[96:97]
	v_mul_f64_e32 v[138:139], s[22:23], v[96:97]
	;; [unrolled: 1-line block ×3, first 2 shown]
	v_add_f64_e32 v[72:73], v[72:73], v[220:221]
	v_mul_f64_e32 v[144:145], s[20:21], v[118:119]
	v_mul_f64_e32 v[220:221], s[22:23], v[116:117]
	;; [unrolled: 1-line block ×3, first 2 shown]
	v_add_f64_e64 v[126:127], v[126:127], -v[142:143]
	v_add_f64_e64 v[102:103], v[102:103], -v[106:107]
	v_add_f64_e32 v[94:95], v[2:3], v[94:95]
	v_add_f64_e64 v[66:67], v[66:67], -v[98:99]
	v_mul_f64_e32 v[98:99], s[26:27], v[134:135]
	v_mul_f64_e32 v[106:107], s[2:3], v[134:135]
	;; [unrolled: 1-line block ×3, first 2 shown]
	v_add_f64_e32 v[202:203], v[202:203], v[236:237]
	v_add_f64_e32 v[84:85], v[148:149], v[84:85]
	;; [unrolled: 1-line block ×4, first 2 shown]
	v_mul_f64_e32 v[146:147], s[16:17], v[172:173]
	v_mul_f64_e32 v[148:149], s[18:19], v[174:175]
	v_add_f64_e32 v[48:49], v[48:49], v[140:141]
	v_add_f64_e32 v[90:91], v[2:3], v[90:91]
	;; [unrolled: 1-line block ×3, first 2 shown]
	v_mul_f64_e32 v[140:141], s[14:15], v[134:135]
	v_add_f64_e32 v[88:89], v[0:1], v[88:89]
	v_add_f64_e32 v[100:101], v[150:151], v[100:101]
	;; [unrolled: 1-line block ×6, first 2 shown]
	v_mul_f64_e32 v[72:73], s[18:19], v[136:137]
	v_mul_f64_e32 v[104:105], s[30:31], v[136:137]
	;; [unrolled: 1-line block ×6, first 2 shown]
	v_add_f64_e64 v[118:119], v[192:193], -v[118:119]
	v_add_f64_e32 v[112:113], v[220:221], v[112:113]
	v_add_f64_e64 v[64:65], v[64:65], -v[144:145]
	v_mul_f64_e32 v[144:145], s[38:39], v[174:175]
	v_add_f64_e64 v[142:143], v[206:207], -v[142:143]
	v_add_f64_e32 v[56:57], v[98:99], v[56:57]
	v_add_f64_e32 v[106:107], v[106:107], v[166:167]
	;; [unrolled: 1-line block ×3, first 2 shown]
	v_add_f64_e64 v[124:125], v[124:125], -v[148:149]
	v_add_f64_e32 v[120:121], v[146:147], v[120:121]
	v_mul_f64_e32 v[98:99], s[6:7], v[176:177]
	v_add_f64_e32 v[48:49], v[48:49], v[58:59]
	v_add_f64_e32 v[90:91], v[102:103], v[90:91]
	v_add_f64_e32 v[2:3], v[66:67], v[2:3]
	v_mul_f64_e32 v[58:59], s[26:27], v[172:173]
	v_mul_f64_e32 v[66:67], s[14:15], v[172:173]
	v_add_f64_e32 v[88:89], v[100:101], v[88:89]
	v_mul_f64_e32 v[102:103], s[22:23], v[172:173]
	v_mul_f64_e32 v[100:101], s[10:11], v[174:175]
	v_add_f64_e32 v[140:141], v[140:141], v[188:189]
	v_add_f64_e32 v[52:53], v[68:69], v[52:53]
	v_mul_f64_e32 v[68:69], s[36:37], v[174:175]
	v_add_f64_e64 v[104:105], v[128:129], -v[104:105]
	v_add_f64_e64 v[42:43], v[42:43], -v[72:73]
	v_add_f64_e32 v[72:73], v[202:203], v[78:79]
	v_add_f64_e64 v[138:139], v[170:171], -v[138:139]
	v_add_f64_e64 v[136:137], v[234:235], -v[136:137]
	v_add_f64_e32 v[78:79], v[118:119], v[84:85]
	v_add_f64_e32 v[150:151], v[150:151], v[214:215]
	v_mul_f64_e32 v[118:119], s[14:15], v[176:177]
	v_mul_f64_e32 v[128:129], s[36:37], v[178:179]
	v_add_f64_e32 v[32:33], v[48:49], v[32:33]
	v_add_f64_e32 v[84:85], v[114:115], v[90:91]
	;; [unrolled: 1-line block ×3, first 2 shown]
	v_mul_f64_e32 v[64:65], s[38:39], v[178:179]
	v_add_f64_e32 v[66:67], v[66:67], v[152:153]
	v_add_f64_e32 v[36:37], v[58:59], v[36:37]
	v_add_f64_e32 v[102:103], v[102:103], v[184:185]
	v_add_f64_e64 v[100:101], v[168:169], -v[100:101]
	v_mul_f64_e32 v[114:115], s[16:17], v[176:177]
	v_add_f64_e32 v[48:49], v[52:53], v[54:55]
	v_mul_f64_e32 v[52:53], s[22:23], v[176:177]
	v_add_f64_e64 v[68:69], v[154:155], -v[68:69]
	v_mul_f64_e32 v[54:55], s[24:25], v[178:179]
	v_add_f64_e32 v[82:83], v[150:151], v[82:83]
	v_add_f64_e32 v[32:33], v[32:33], v[34:35]
	v_add_f64_e64 v[34:35], v[110:111], -v[128:129]
	v_add_f64_e32 v[2:3], v[42:43], v[2:3]
	v_add_f64_e64 v[64:65], v[162:163], -v[64:65]
	v_add_f64_e32 v[28:29], v[48:49], v[28:29]
	v_add_f64_e32 v[48:49], v[114:115], v[208:209]
	v_add_f64_e64 v[54:55], v[158:159], -v[54:55]
	v_add_f64_e32 v[50:51], v[32:33], v[50:51]
	s_wait_loadcnt 0x0
	v_add_f64_e32 v[70:71], v[70:71], v[86:87]
	v_mul_f64_e32 v[86:87], s[14:15], v[116:117]
	v_mul_f64_e32 v[116:117], s[2:3], v[116:117]
	s_delay_alu instid0(VALU_DEP_3)
	v_add_f64_e32 v[0:1], v[0:1], v[70:71]
	v_mul_f64_e32 v[70:71], s[16:17], v[134:135]
	v_mul_f64_e32 v[134:135], s[6:7], v[134:135]
	v_add_f64_e32 v[60:61], v[86:87], v[60:61]
	v_add_f64_e32 v[86:87], v[126:127], v[94:95]
	;; [unrolled: 1-line block ×4, first 2 shown]
	v_mul_f64_e32 v[96:97], s[6:7], v[172:173]
	v_mul_f64_e32 v[126:127], s[2:3], v[172:173]
	v_add_f64_e64 v[172:173], v[224:225], -v[196:197]
	v_mul_f64_e32 v[122:123], s[42:43], v[174:175]
	v_add_f64_e32 v[0:1], v[62:63], v[0:1]
	v_mul_f64_e32 v[62:63], s[28:29], v[174:175]
	v_add_f64_e32 v[134:135], v[134:135], v[232:233]
	v_add_f64_e32 v[38:39], v[70:71], v[38:39]
	;; [unrolled: 1-line block ×8, first 2 shown]
	v_mul_f64_e32 v[94:95], s[28:29], v[178:179]
	v_mul_f64_e32 v[116:117], s[18:19], v[178:179]
	v_add_f64_e64 v[130:131], v[216:217], -v[144:145]
	v_mul_f64_e32 v[92:93], s[26:27], v[176:177]
	v_add_f64_e64 v[122:123], v[186:187], -v[122:123]
	v_add_f64_e32 v[96:97], v[96:97], v[164:165]
	v_mul_f64_e32 v[112:113], s[40:41], v[178:179]
	v_add_f64_e32 v[126:127], v[126:127], v[210:211]
	v_add_f64_e32 v[0:1], v[60:61], v[0:1]
	v_mul_f64_e32 v[60:61], s[2:3], v[176:177]
	v_add_f64_e64 v[40:41], v[40:41], -v[62:63]
	v_add_f64_e32 v[62:63], v[134:135], v[72:73]
	v_add_f64_e32 v[58:59], v[136:137], v[70:71]
	;; [unrolled: 1-line block ×9, first 2 shown]
	v_add_f64_e64 v[42:43], v[212:213], -v[116:117]
	v_add_f64_e64 v[90:91], v[182:183], -v[94:95]
	v_add_f64_e32 v[94:95], v[52:53], v[156:157]
	v_add_f64_e32 v[92:93], v[92:93], v[180:181]
	v_add_f64_e64 v[86:87], v[200:201], -v[112:113]
	v_add_f64_e32 v[88:89], v[98:99], v[194:195]
	v_add_f64_e32 v[0:1], v[38:39], v[0:1]
	;; [unrolled: 1-line block ×30, first 2 shown]
	v_lshrrev_b32_e32 v44, 1, v76
	s_delay_alu instid0(VALU_DEP_1) | instskip(NEXT) | instid1(VALU_DEP_1)
	v_mul_u32_u24_e32 v44, 26, v44
	v_or_b32_e32 v44, v44, v249
	s_delay_alu instid0(VALU_DEP_1)
	v_lshl_add_u32 v44, v44, 4, 0
	v_add_f64_e32 v[46:47], v[94:95], v[84:85]
	ds_store_b128 v44, v[20:23] offset:256
	ds_store_b128 v44, v[24:27] offset:288
	;; [unrolled: 1-line block ×10, first 2 shown]
	ds_store_b128 v44, v[50:53]
	ds_store_b128 v44, v[46:49] offset:32
	ds_store_b128 v44, v[16:19] offset:384
.LBB0_25:
	s_wait_alu 0xfffe
	s_or_b32 exec_lo, exec_lo, s1
	global_wb scope:SCOPE_SE
	s_wait_dscnt 0x0
	s_barrier_signal -1
	s_barrier_wait -1
	global_inv scope:SCOPE_SE
	ds_load_b128 v[28:31], v248
	ds_load_b128 v[48:51], v248 offset:4576
	ds_load_b128 v[44:47], v248 offset:9152
	;; [unrolled: 1-line block ×6, first 2 shown]
	v_cmp_gt_u32_e64 s0, 0x68, v76
                                        ; implicit-def: $vgpr2_vgpr3
	s_delay_alu instid0(VALU_DEP_1)
	s_and_saveexec_b32 s1, s0
	s_cbranch_execz .LBB0_27
; %bb.26:
	ds_load_b128 v[4:7], v248 offset:2912
	ds_load_b128 v[20:23], v248 offset:7488
	;; [unrolled: 1-line block ×7, first 2 shown]
.LBB0_27:
	s_wait_alu 0xfffe
	s_or_b32 exec_lo, exec_lo, s1
	v_and_b32_e32 v56, 0xff, v76
	s_mov_b32 s6, 0x37e14327
	s_mov_b32 s10, 0xe976ee23
	;; [unrolled: 1-line block ×4, first 2 shown]
	v_mul_lo_u16 v56, 0x4f, v56
	s_mov_b32 s2, 0x429ad128
	s_mov_b32 s3, 0xbfebfeb5
	s_mov_b32 s16, 0x36b3c0b5
	s_mov_b32 s17, 0x3fac98ee
	v_lshrrev_b16 v94, 11, v56
	s_mov_b32 s12, 0xaaaaaaaa
	s_mov_b32 s20, 0xb247c609
	;; [unrolled: 1-line block ×4, first 2 shown]
	v_mul_lo_u16 v56, v94, 26
	s_mov_b32 s21, 0xbfd5d0dc
	s_mov_b32 s15, 0x3fe77f67
	;; [unrolled: 1-line block ×4, first 2 shown]
	v_sub_nc_u16 v56, v76, v56
	s_wait_alu 0xfffe
	s_mov_b32 s18, s14
	s_mov_b32 s22, s20
	;; [unrolled: 1-line block ×4, first 2 shown]
	v_and_b32_e32 v95, 0xff, v56
	s_delay_alu instid0(VALU_DEP_1) | instskip(NEXT) | instid1(VALU_DEP_1)
	v_mul_u32_u24_e32 v56, 6, v95
	v_lshlrev_b32_e32 v78, 4, v56
	s_clause 0x5
	global_load_b128 v[56:59], v78, s[4:5] offset:384
	global_load_b128 v[60:63], v78, s[4:5] offset:400
	;; [unrolled: 1-line block ×6, first 2 shown]
	global_wb scope:SCOPE_SE
	s_wait_loadcnt_dscnt 0x0
	s_barrier_signal -1
	s_barrier_wait -1
	global_inv scope:SCOPE_SE
	v_mul_f64_e32 v[78:79], v[50:51], v[58:59]
	v_mul_f64_e32 v[58:59], v[48:49], v[58:59]
	;; [unrolled: 1-line block ×12, first 2 shown]
	v_fma_f64 v[48:49], v[48:49], v[56:57], v[78:79]
	v_fma_f64 v[50:51], v[50:51], v[56:57], -v[58:59]
	v_fma_f64 v[44:45], v[44:45], v[60:61], v[84:85]
	v_fma_f64 v[46:47], v[46:47], v[60:61], -v[62:63]
	;; [unrolled: 2-line block ×6, first 2 shown]
	v_add_f64_e32 v[56:57], v[48:49], v[52:53]
	v_add_f64_e32 v[58:59], v[50:51], v[54:55]
	v_add_f64_e32 v[60:61], v[44:45], v[40:41]
	v_add_f64_e32 v[62:63], v[46:47], v[42:43]
	v_add_f64_e64 v[40:41], v[44:45], -v[40:41]
	v_add_f64_e64 v[42:43], v[46:47], -v[42:43]
	v_add_f64_e32 v[44:45], v[36:37], v[32:33]
	v_add_f64_e32 v[46:47], v[38:39], v[34:35]
	v_add_f64_e64 v[32:33], v[32:33], -v[36:37]
	v_add_f64_e64 v[34:35], v[34:35], -v[38:39]
	;; [unrolled: 1-line block ×4, first 2 shown]
	v_add_f64_e32 v[48:49], v[60:61], v[56:57]
	v_add_f64_e32 v[50:51], v[62:63], v[58:59]
	v_add_f64_e64 v[52:53], v[56:57], -v[44:45]
	v_add_f64_e64 v[54:55], v[58:59], -v[46:47]
	;; [unrolled: 1-line block ×6, first 2 shown]
	v_add_f64_e32 v[40:41], v[32:33], v[40:41]
	v_add_f64_e32 v[42:43], v[34:35], v[42:43]
	v_add_f64_e64 v[32:33], v[36:37], -v[32:33]
	v_add_f64_e64 v[34:35], v[38:39], -v[34:35]
	;; [unrolled: 1-line block ×4, first 2 shown]
	v_add_f64_e32 v[48:49], v[44:45], v[48:49]
	v_add_f64_e32 v[50:51], v[46:47], v[50:51]
	v_add_f64_e64 v[44:45], v[44:45], -v[60:61]
	v_add_f64_e64 v[46:47], v[46:47], -v[62:63]
	v_mul_f64_e32 v[52:53], s[6:7], v[52:53]
	v_mul_f64_e32 v[54:55], s[6:7], v[54:55]
	;; [unrolled: 1-line block ×6, first 2 shown]
	v_add_f64_e32 v[36:37], v[40:41], v[36:37]
	v_add_f64_e32 v[38:39], v[42:43], v[38:39]
	;; [unrolled: 1-line block ×4, first 2 shown]
	v_mul_f64_e32 v[60:61], s[16:17], v[44:45]
	v_mul_f64_e32 v[62:63], s[16:17], v[46:47]
	v_fma_f64 v[40:41], v[44:45], s[16:17], v[52:53]
	v_fma_f64 v[42:43], v[46:47], s[16:17], v[54:55]
	;; [unrolled: 1-line block ×4, first 2 shown]
	v_fma_f64 v[64:65], v[68:69], s[2:3], -v[64:65]
	v_fma_f64 v[66:67], v[70:71], s[2:3], -v[66:67]
	s_wait_alu 0xfffe
	v_fma_f64 v[32:33], v[32:33], s[22:23], -v[72:73]
	v_fma_f64 v[34:35], v[34:35], s[22:23], -v[74:75]
	;; [unrolled: 1-line block ×4, first 2 shown]
	v_fma_f64 v[48:49], v[48:49], s[12:13], v[28:29]
	v_fma_f64 v[50:51], v[50:51], s[12:13], v[30:31]
	v_fma_f64 v[56:57], v[56:57], s[14:15], -v[60:61]
	v_fma_f64 v[58:59], v[58:59], s[14:15], -v[62:63]
	v_fma_f64 v[60:61], v[36:37], s[24:25], v[44:45]
	v_fma_f64 v[62:63], v[38:39], s[24:25], v[46:47]
	v_fma_f64 v[46:47], v[36:37], s[24:25], v[64:65]
	v_fma_f64 v[44:45], v[38:39], s[24:25], v[66:67]
	v_fma_f64 v[64:65], v[36:37], s[24:25], v[32:33]
	v_fma_f64 v[66:67], v[38:39], s[24:25], v[34:35]
	v_add_f64_e32 v[68:69], v[40:41], v[48:49]
	v_add_f64_e32 v[70:71], v[42:43], v[50:51]
	;; [unrolled: 1-line block ×6, first 2 shown]
	v_and_b32_e32 v56, 0xffff, v94
	v_lshlrev_b32_e32 v57, 4, v95
	s_delay_alu instid0(VALU_DEP_2) | instskip(NEXT) | instid1(VALU_DEP_1)
	v_mul_u32_u24_e32 v56, 0xb60, v56
	v_add3_u32 v56, 0, v56, v57
	v_add_f64_e32 v[32:33], v[62:63], v[68:69]
	v_add_f64_e64 v[34:35], v[70:71], -v[60:61]
	v_add_f64_e32 v[36:37], v[66:67], v[52:53]
	v_add_f64_e64 v[38:39], v[54:55], -v[64:65]
	v_add_f64_e64 v[40:41], v[48:49], -v[44:45]
	v_add_f64_e32 v[42:43], v[46:47], v[50:51]
	v_add_f64_e32 v[44:45], v[44:45], v[48:49]
	v_add_f64_e64 v[46:47], v[50:51], -v[46:47]
	v_add_f64_e64 v[48:49], v[52:53], -v[66:67]
	v_add_f64_e32 v[50:51], v[64:65], v[54:55]
	v_add_f64_e64 v[52:53], v[68:69], -v[62:63]
	v_add_f64_e32 v[54:55], v[60:61], v[70:71]
	ds_store_b128 v56, v[28:31]
	ds_store_b128 v56, v[32:35] offset:416
	ds_store_b128 v56, v[36:39] offset:832
	;; [unrolled: 1-line block ×6, first 2 shown]
	s_and_saveexec_b32 s1, s0
	s_cbranch_execz .LBB0_29
; %bb.28:
	v_and_b32_e32 v28, 0xffff, v77
	s_delay_alu instid0(VALU_DEP_1) | instskip(NEXT) | instid1(VALU_DEP_1)
	v_mul_u32_u24_e32 v28, 0x4ec5, v28
	v_lshrrev_b32_e32 v64, 19, v28
	s_delay_alu instid0(VALU_DEP_1) | instskip(NEXT) | instid1(VALU_DEP_1)
	v_mul_lo_u16 v28, v64, 26
	v_sub_nc_u16 v28, v77, v28
	s_delay_alu instid0(VALU_DEP_1) | instskip(NEXT) | instid1(VALU_DEP_1)
	v_and_b32_e32 v65, 0xffff, v28
	v_mul_u32_u24_e32 v28, 6, v65
	s_delay_alu instid0(VALU_DEP_1)
	v_lshlrev_b32_e32 v48, 4, v28
	s_clause 0x5
	global_load_b128 v[28:31], v48, s[4:5] offset:400
	global_load_b128 v[32:35], v48, s[4:5] offset:448
	;; [unrolled: 1-line block ×6, first 2 shown]
	s_wait_loadcnt 0x5
	v_mul_f64_e32 v[52:53], v[24:25], v[30:31]
	s_wait_loadcnt 0x4
	v_mul_f64_e32 v[54:55], v[16:17], v[34:35]
	;; [unrolled: 2-line block ×4, first 2 shown]
	v_mul_f64_e32 v[30:31], v[26:27], v[30:31]
	v_mul_f64_e32 v[34:35], v[18:19], v[34:35]
	;; [unrolled: 1-line block ×4, first 2 shown]
	s_wait_loadcnt 0x1
	v_mul_f64_e32 v[60:61], v[10:11], v[46:47]
	s_wait_loadcnt 0x0
	v_mul_f64_e32 v[62:63], v[14:15], v[50:51]
	v_mul_f64_e32 v[50:51], v[12:13], v[50:51]
	;; [unrolled: 1-line block ×3, first 2 shown]
	v_fma_f64 v[26:27], v[26:27], v[28:29], -v[52:53]
	v_fma_f64 v[18:19], v[18:19], v[32:33], -v[54:55]
	;; [unrolled: 1-line block ×4, first 2 shown]
	v_fma_f64 v[24:25], v[24:25], v[28:29], v[30:31]
	v_fma_f64 v[16:17], v[16:17], v[32:33], v[34:35]
	;; [unrolled: 1-line block ×6, first 2 shown]
	v_fma_f64 v[14:15], v[14:15], v[48:49], -v[50:51]
	v_fma_f64 v[10:11], v[10:11], v[44:45], -v[46:47]
	v_add_f64_e32 v[28:29], v[26:27], v[18:19]
	v_add_f64_e32 v[30:31], v[22:23], v[2:3]
	;; [unrolled: 1-line block ×3, first 2 shown]
	v_add_f64_e64 v[16:17], v[24:25], -v[16:17]
	v_add_f64_e32 v[34:35], v[20:21], v[0:1]
	v_add_f64_e64 v[36:37], v[8:9], -v[12:13]
	v_add_f64_e32 v[8:9], v[12:13], v[8:9]
	v_add_f64_e32 v[24:25], v[14:15], v[10:11]
	v_add_f64_e64 v[12:13], v[20:21], -v[0:1]
	v_add_f64_e64 v[10:11], v[10:11], -v[14:15]
	;; [unrolled: 1-line block ×4, first 2 shown]
	v_add_f64_e32 v[0:1], v[28:29], v[30:31]
	v_add_f64_e32 v[2:3], v[32:33], v[34:35]
	v_add_f64_e64 v[20:21], v[36:37], -v[16:17]
	v_add_f64_e64 v[26:27], v[34:35], -v[8:9]
	v_add_f64_e64 v[22:23], v[30:31], -v[24:25]
	v_add_f64_e64 v[38:39], v[16:17], -v[12:13]
	v_add_f64_e32 v[16:17], v[36:37], v[16:17]
	v_add_f64_e64 v[36:37], v[12:13], -v[36:37]
	v_add_f64_e64 v[42:43], v[14:15], -v[18:19]
	v_add_f64_e32 v[40:41], v[24:25], v[0:1]
	v_add_f64_e64 v[24:25], v[24:25], -v[28:29]
	v_add_f64_e64 v[0:1], v[10:11], -v[14:15]
	v_add_f64_e32 v[14:15], v[10:11], v[14:15]
	v_add_f64_e32 v[44:45], v[8:9], v[2:3]
	v_add_f64_e64 v[8:9], v[8:9], -v[32:33]
	v_mul_f64_e32 v[20:21], s[10:11], v[20:21]
	v_mul_f64_e32 v[26:27], s[6:7], v[26:27]
	;; [unrolled: 1-line block ×4, first 2 shown]
	v_add_f64_e64 v[10:11], v[18:19], -v[10:11]
	v_add_f64_e32 v[12:13], v[16:17], v[12:13]
	v_mul_f64_e32 v[48:49], s[2:3], v[42:43]
	v_add_f64_e32 v[2:3], v[6:7], v[40:41]
	v_add_f64_e64 v[6:7], v[28:29], -v[30:31]
	v_mul_f64_e32 v[28:29], s[16:17], v[24:25]
	v_mul_f64_e32 v[30:31], s[10:11], v[0:1]
	v_add_f64_e32 v[0:1], v[4:5], v[44:45]
	v_add_f64_e64 v[4:5], v[32:33], -v[34:35]
	v_mul_f64_e32 v[32:33], s[16:17], v[8:9]
	v_add_f64_e32 v[14:15], v[14:15], v[18:19]
	v_fma_f64 v[16:17], v[36:37], s[20:21], v[20:21]
	v_fma_f64 v[18:19], v[24:25], s[16:17], v[22:23]
	;; [unrolled: 1-line block ×3, first 2 shown]
	v_fma_f64 v[24:25], v[36:37], s[22:23], -v[46:47]
	v_fma_f64 v[20:21], v[38:39], s[2:3], -v[20:21]
	v_fma_f64 v[34:35], v[40:41], s[12:13], v[2:3]
	v_fma_f64 v[22:23], v[6:7], s[18:19], -v[22:23]
	v_fma_f64 v[6:7], v[6:7], s[14:15], -v[28:29]
	v_fma_f64 v[28:29], v[10:11], s[20:21], v[30:31]
	v_fma_f64 v[36:37], v[44:45], s[12:13], v[0:1]
	v_fma_f64 v[10:11], v[10:11], s[22:23], -v[48:49]
	v_fma_f64 v[26:27], v[4:5], s[18:19], -v[26:27]
	;; [unrolled: 1-line block ×4, first 2 shown]
	v_fma_f64 v[16:17], v[12:13], s[24:25], v[16:17]
	v_fma_f64 v[24:25], v[12:13], s[24:25], v[24:25]
	;; [unrolled: 1-line block ×3, first 2 shown]
	v_add_f64_e32 v[20:21], v[18:19], v[34:35]
	v_add_f64_e32 v[22:23], v[22:23], v[34:35]
	;; [unrolled: 1-line block ×3, first 2 shown]
	v_fma_f64 v[28:29], v[14:15], s[24:25], v[28:29]
	v_add_f64_e32 v[34:35], v[8:9], v[36:37]
	v_fma_f64 v[32:33], v[14:15], s[24:25], v[10:11]
	v_add_f64_e32 v[8:9], v[26:27], v[36:37]
	;; [unrolled: 2-line block ×3, first 2 shown]
	v_add_f64_e64 v[26:27], v[20:21], -v[16:17]
	v_add_f64_e32 v[10:11], v[24:25], v[22:23]
	v_add_f64_e64 v[22:23], v[22:23], -v[24:25]
	v_add_f64_e32 v[6:7], v[16:17], v[20:21]
	v_add_f64_e32 v[24:25], v[28:29], v[34:35]
	v_add_f64_e64 v[14:15], v[18:19], -v[12:13]
	v_add_f64_e32 v[20:21], v[32:33], v[8:9]
	;; [unrolled: 3-line block ×3, first 2 shown]
	v_add_f64_e64 v[8:9], v[8:9], -v[32:33]
	v_add_f64_e64 v[4:5], v[34:35], -v[28:29]
	v_mul_lo_u16 v28, 0xb6, v64
	v_lshlrev_b32_e32 v29, 4, v65
	s_delay_alu instid0(VALU_DEP_2) | instskip(NEXT) | instid1(VALU_DEP_1)
	v_and_b32_e32 v28, 0xffff, v28
	v_lshlrev_b32_e32 v28, 4, v28
	s_delay_alu instid0(VALU_DEP_1)
	v_add3_u32 v28, 0, v29, v28
	ds_store_b128 v28, v[0:3]
	ds_store_b128 v28, v[24:27] offset:416
	ds_store_b128 v28, v[20:23] offset:832
	;; [unrolled: 1-line block ×6, first 2 shown]
.LBB0_29:
	s_wait_alu 0xfffe
	s_or_b32 exec_lo, exec_lo, s1
	v_mul_u32_u24_e32 v0, 10, v76
	global_wb scope:SCOPE_SE
	s_wait_dscnt 0x0
	s_barrier_signal -1
	s_barrier_wait -1
	global_inv scope:SCOPE_SE
	v_lshlrev_b32_e32 v4, 4, v0
	s_mov_b32 s0, 0xf8bb580b
	s_mov_b32 s2, 0x8764f0ba
	;; [unrolled: 1-line block ×4, first 2 shown]
	s_clause 0x9
	global_load_b128 v[0:3], v4, s[4:5] offset:2880
	global_load_b128 v[8:11], v4, s[4:5] offset:3024
	;; [unrolled: 1-line block ×10, first 2 shown]
	ds_load_b128 v[4:7], v248 offset:2912
	ds_load_b128 v[44:47], v248 offset:29120
	;; [unrolled: 1-line block ×10, first 2 shown]
	s_mov_b32 s1, 0xbfe14ced
	s_mov_b32 s3, 0x3feaeb8c
	;; [unrolled: 1-line block ×18, first 2 shown]
	s_wait_alu 0xfffe
	s_mov_b32 s4, s0
	s_mov_b32 s12, s6
	;; [unrolled: 1-line block ×8, first 2 shown]
	s_wait_loadcnt_dscnt 0x909
	v_mul_f64_e32 v[77:78], v[6:7], v[2:3]
	v_mul_f64_e32 v[2:3], v[4:5], v[2:3]
	s_wait_loadcnt_dscnt 0x808
	v_mul_f64_e32 v[84:85], v[44:45], v[10:11]
	s_wait_loadcnt_dscnt 0x707
	;; [unrolled: 2-line block ×3, first 2 shown]
	v_mul_f64_e32 v[88:89], v[52:53], v[18:19]
	v_mul_f64_e32 v[14:15], v[50:51], v[14:15]
	s_wait_loadcnt_dscnt 0x505
	v_mul_f64_e32 v[92:93], v[56:57], v[22:23]
	s_wait_loadcnt_dscnt 0x404
	v_mul_f64_e32 v[94:95], v[60:61], v[26:27]
	v_mul_f64_e32 v[10:11], v[46:47], v[10:11]
	;; [unrolled: 1-line block ×5, first 2 shown]
	s_wait_loadcnt_dscnt 0x201
	v_mul_f64_e32 v[98:99], v[74:75], v[34:35]
	v_mul_f64_e32 v[34:35], v[72:73], v[34:35]
	;; [unrolled: 1-line block ×4, first 2 shown]
	s_wait_loadcnt 0x1
	v_mul_f64_e32 v[100:101], v[70:71], v[38:39]
	v_mul_f64_e32 v[38:39], v[68:69], v[38:39]
	v_fma_f64 v[77:78], v[4:5], v[0:1], v[77:78]
	v_fma_f64 v[90:91], v[6:7], v[0:1], -v[2:3]
	ds_load_b128 v[0:3], v248
	s_wait_loadcnt_dscnt 0x1
	v_mul_f64_e32 v[102:103], v[82:83], v[42:43]
	v_mul_f64_e32 v[42:43], v[80:81], v[42:43]
	v_fma_f64 v[4:5], v[46:47], v[8:9], -v[84:85]
	v_fma_f64 v[46:47], v[50:51], v[12:13], -v[86:87]
	;; [unrolled: 1-line block ×3, first 2 shown]
	v_fma_f64 v[48:49], v[48:49], v[12:13], v[14:15]
	v_fma_f64 v[58:59], v[58:59], v[20:21], -v[92:93]
	v_fma_f64 v[12:13], v[62:63], v[24:25], -v[94:95]
	v_fma_f64 v[8:9], v[44:45], v[8:9], v[10:11]
	v_fma_f64 v[20:21], v[56:57], v[20:21], v[22:23]
	;; [unrolled: 1-line block ×4, first 2 shown]
	v_fma_f64 v[24:25], v[74:75], v[32:33], -v[34:35]
	v_fma_f64 v[10:11], v[52:53], v[16:17], v[18:19]
	v_fma_f64 v[16:17], v[64:65], v[28:29], v[96:97]
	v_fma_f64 v[18:19], v[66:67], v[28:29], -v[30:31]
	v_fma_f64 v[26:27], v[68:69], v[36:37], v[100:101]
	v_fma_f64 v[28:29], v[70:71], v[36:37], -v[38:39]
	global_wb scope:SCOPE_SE
	s_wait_dscnt 0x0
	s_barrier_signal -1
	s_barrier_wait -1
	global_inv scope:SCOPE_SE
	v_add_f64_e32 v[50:51], v[0:1], v[77:78]
	v_add_f64_e32 v[54:55], v[2:3], v[90:91]
	v_fma_f64 v[30:31], v[80:81], v[40:41], v[102:103]
	v_fma_f64 v[32:33], v[82:83], v[40:41], -v[42:43]
	v_add_f64_e64 v[34:35], v[90:91], -v[4:5]
	v_add_f64_e32 v[36:37], v[90:91], v[4:5]
	v_add_f64_e64 v[38:39], v[46:47], -v[6:7]
	v_add_f64_e32 v[40:41], v[46:47], v[6:7]
	v_add_f64_e32 v[52:53], v[77:78], v[8:9]
	;; [unrolled: 1-line block ×3, first 2 shown]
	v_add_f64_e64 v[62:63], v[20:21], -v[14:15]
	v_add_f64_e32 v[56:57], v[48:49], v[10:11]
	v_add_f64_e32 v[64:65], v[16:17], v[22:23]
	;; [unrolled: 1-line block ×3, first 2 shown]
	v_add_f64_e64 v[68:69], v[18:19], -v[24:25]
	v_add_f64_e64 v[70:71], v[16:17], -v[22:23]
	v_add_f64_e32 v[42:43], v[50:51], v[48:49]
	v_add_f64_e32 v[44:45], v[54:55], v[46:47]
	v_add_f64_e64 v[54:55], v[77:78], -v[8:9]
	v_add_f64_e64 v[46:47], v[58:59], -v[12:13]
	v_add_f64_e32 v[74:75], v[28:29], v[32:33]
	v_mul_f64_e32 v[81:82], s[0:1], v[34:35]
	v_mul_f64_e32 v[83:84], s[2:3], v[36:37]
	;; [unrolled: 1-line block ×10, first 2 shown]
	v_add_f64_e32 v[50:51], v[58:59], v[12:13]
	v_add_f64_e64 v[48:49], v[48:49], -v[10:11]
	v_mul_f64_e32 v[97:98], s[6:7], v[38:39]
	v_mul_f64_e32 v[99:100], s[10:11], v[40:41]
	;; [unrolled: 1-line block ×4, first 2 shown]
	s_wait_alu 0xfffe
	v_mul_f64_e32 v[105:106], s[18:19], v[38:39]
	v_mul_f64_e32 v[107:108], s[16:17], v[40:41]
	v_add_f64_e32 v[72:73], v[26:27], v[30:31]
	v_add_f64_e64 v[77:78], v[26:27], -v[30:31]
	v_add_f64_e64 v[79:80], v[28:29], -v[32:33]
	v_mul_f64_e32 v[125:126], s[20:21], v[68:69]
	v_mul_f64_e32 v[129:130], s[18:19], v[68:69]
	;; [unrolled: 1-line block ×10, first 2 shown]
	v_add_f64_e32 v[20:21], v[42:43], v[20:21]
	v_add_f64_e32 v[42:43], v[44:45], v[58:59]
	v_mul_f64_e32 v[44:45], s[22:23], v[40:41]
	v_mul_f64_e32 v[58:59], s[30:31], v[38:39]
	;; [unrolled: 1-line block ×6, first 2 shown]
	v_fma_f64 v[157:158], v[52:53], s[10:11], v[85:86]
	v_fma_f64 v[159:160], v[54:55], s[12:13], v[87:88]
	v_fma_f64 v[85:86], v[52:53], s[10:11], -v[85:86]
	v_fma_f64 v[161:162], v[52:53], s[16:17], v[89:90]
	v_fma_f64 v[163:164], v[54:55], s[18:19], v[91:92]
	v_fma_f64 v[89:90], v[52:53], s[16:17], -v[89:90]
	v_fma_f64 v[165:166], v[52:53], s[22:23], v[93:94]
	v_fma_f64 v[167:168], v[54:55], s[24:25], v[95:96]
	v_mul_f64_e32 v[38:39], s[4:5], v[38:39]
	v_mul_f64_e32 v[40:41], s[2:3], v[40:41]
	v_fma_f64 v[93:94], v[52:53], s[22:23], -v[93:94]
	v_fma_f64 v[169:170], v[52:53], s[28:29], v[34:35]
	v_fma_f64 v[171:172], v[54:55], s[30:31], v[36:37]
	v_fma_f64 v[34:35], v[52:53], s[28:29], -v[34:35]
	v_fma_f64 v[36:37], v[54:55], s[26:27], v[36:37]
	v_fma_f64 v[95:96], v[54:55], s[20:21], v[95:96]
	;; [unrolled: 1-line block ×4, first 2 shown]
	v_mul_f64_e32 v[109:110], s[14:15], v[46:47]
	v_mul_f64_e32 v[111:112], s[16:17], v[50:51]
	;; [unrolled: 1-line block ×4, first 2 shown]
	v_fma_f64 v[173:174], v[56:57], s[22:23], v[101:102]
	v_mul_f64_e32 v[117:118], s[12:13], v[46:47]
	v_mul_f64_e32 v[119:120], s[10:11], v[50:51]
	v_fma_f64 v[101:102], v[56:57], s[22:23], -v[101:102]
	v_fma_f64 v[179:180], v[48:49], s[26:27], v[103:104]
	v_mul_f64_e32 v[121:122], s[0:1], v[46:47]
	v_mul_f64_e32 v[123:124], s[2:3], v[50:51]
	v_fma_f64 v[181:182], v[56:57], s[16:17], v[105:106]
	v_add_f64_e32 v[16:17], v[20:21], v[16:17]
	v_add_f64_e32 v[18:19], v[42:43], v[18:19]
	v_mul_f64_e32 v[20:21], s[16:17], v[74:75]
	v_fma_f64 v[42:43], v[52:53], s[2:3], v[81:82]
	v_fma_f64 v[74:75], v[54:55], s[4:5], v[83:84]
	v_fma_f64 v[81:82], v[52:53], s[2:3], -v[81:82]
	v_fma_f64 v[83:84], v[54:55], s[0:1], v[83:84]
	v_fma_f64 v[52:53], v[56:57], s[10:11], v[97:98]
	;; [unrolled: 1-line block ×3, first 2 shown]
	v_fma_f64 v[97:98], v[56:57], s[10:11], -v[97:98]
	v_fma_f64 v[99:100], v[48:49], s[6:7], v[99:100]
	v_fma_f64 v[175:176], v[48:49], s[24:25], v[44:45]
	v_add_f64_e32 v[157:158], v[0:1], v[157:158]
	v_add_f64_e32 v[159:160], v[2:3], v[159:160]
	v_fma_f64 v[177:178], v[56:57], s[28:29], v[58:59]
	v_add_f64_e32 v[85:86], v[0:1], v[85:86]
	v_add_f64_e32 v[161:162], v[0:1], v[161:162]
	;; [unrolled: 1-line block ×3, first 2 shown]
	v_fma_f64 v[58:59], v[56:57], s[28:29], -v[58:59]
	v_fma_f64 v[183:184], v[48:49], s[14:15], v[107:108]
	v_add_f64_e32 v[89:90], v[0:1], v[89:90]
	v_add_f64_e32 v[165:166], v[0:1], v[165:166]
	;; [unrolled: 1-line block ×3, first 2 shown]
	v_mul_f64_e32 v[46:47], s[20:21], v[46:47]
	v_mul_f64_e32 v[50:51], s[22:23], v[50:51]
	v_fma_f64 v[105:106], v[56:57], s[16:17], -v[105:106]
	v_add_f64_e32 v[93:94], v[0:1], v[93:94]
	v_add_f64_e32 v[169:170], v[0:1], v[169:170]
	;; [unrolled: 1-line block ×3, first 2 shown]
	v_fma_f64 v[103:104], v[48:49], s[30:31], v[103:104]
	v_add_f64_e32 v[91:92], v[2:3], v[91:92]
	v_fma_f64 v[44:45], v[48:49], s[20:21], v[44:45]
	v_add_f64_e32 v[87:88], v[2:3], v[87:88]
	v_fma_f64 v[185:186], v[60:61], s[28:29], v[113:114]
	v_fma_f64 v[187:188], v[62:63], s[26:27], v[115:116]
	;; [unrolled: 1-line block ×4, first 2 shown]
	v_fma_f64 v[117:118], v[60:61], s[10:11], -v[117:118]
	v_add_f64_e32 v[16:17], v[16:17], v[26:27]
	v_add_f64_e32 v[18:19], v[18:19], v[28:29]
	v_fma_f64 v[26:27], v[48:49], s[18:19], v[107:108]
	v_add_f64_e32 v[42:43], v[0:1], v[42:43]
	v_fma_f64 v[28:29], v[56:57], s[2:3], v[38:39]
	v_add_f64_e32 v[81:82], v[0:1], v[81:82]
	v_add_f64_e32 v[83:84], v[2:3], v[83:84]
	v_fma_f64 v[107:108], v[48:49], s[0:1], v[40:41]
	v_fma_f64 v[38:39], v[56:57], s[2:3], -v[38:39]
	v_fma_f64 v[40:41], v[48:49], s[4:5], v[40:41]
	v_add_f64_e32 v[0:1], v[0:1], v[34:35]
	v_add_f64_e32 v[34:35], v[2:3], v[36:37]
	;; [unrolled: 1-line block ×4, first 2 shown]
	v_fma_f64 v[48:49], v[60:61], s[16:17], v[109:110]
	v_fma_f64 v[56:57], v[62:63], s[18:19], v[111:112]
	v_fma_f64 v[109:110], v[60:61], s[16:17], -v[109:110]
	v_fma_f64 v[111:112], v[62:63], s[14:15], v[111:112]
	v_add_f64_e32 v[85:86], v[101:102], v[85:86]
	v_add_f64_e32 v[101:102], v[179:180], v[163:164]
	;; [unrolled: 1-line block ×4, first 2 shown]
	v_fma_f64 v[74:75], v[60:61], s[2:3], -v[121:122]
	v_fma_f64 v[95:96], v[62:63], s[0:1], v[123:124]
	v_fma_f64 v[119:120], v[62:63], s[12:13], v[119:120]
	v_fma_f64 v[113:114], v[60:61], s[28:29], -v[113:114]
	v_add_f64_e32 v[93:94], v[105:106], v[93:94]
	v_fma_f64 v[115:116], v[62:63], s[30:31], v[115:116]
	v_mul_f64_e32 v[145:146], s[4:5], v[79:80]
	v_fma_f64 v[193:194], v[64:65], s[16:17], v[129:130]
	v_fma_f64 v[195:196], v[70:71], s[14:15], v[131:132]
	v_mul_f64_e32 v[149:150], s[20:21], v[79:80]
	v_mul_f64_e32 v[153:154], s[12:13], v[79:80]
	v_mul_f64_e32 v[141:142], s[26:27], v[79:80]
	v_mul_f64_e32 v[79:80], s[14:15], v[79:80]
	v_fma_f64 v[129:130], v[64:65], s[16:17], -v[129:130]
	v_fma_f64 v[131:132], v[70:71], s[18:19], v[131:132]
	v_add_f64_e32 v[16:17], v[16:17], v[30:31]
	v_add_f64_e32 v[18:19], v[18:19], v[32:33]
	v_fma_f64 v[30:31], v[60:61], s[2:3], v[121:122]
	v_add_f64_e32 v[42:43], v[52:53], v[42:43]
	v_fma_f64 v[32:33], v[62:63], s[4:5], v[123:124]
	v_add_f64_e32 v[52:53], v[97:98], v[81:82]
	v_add_f64_e32 v[81:82], v[99:100], v[83:84]
	;; [unrolled: 1-line block ×6, first 2 shown]
	v_fma_f64 v[121:122], v[60:61], s[22:23], v[46:47]
	v_fma_f64 v[123:124], v[62:63], s[24:25], v[50:51]
	v_add_f64_e32 v[28:29], v[28:29], v[169:170]
	v_add_f64_e32 v[105:106], v[107:108], v[171:172]
	v_fma_f64 v[46:47], v[60:61], s[22:23], -v[46:47]
	v_fma_f64 v[50:51], v[62:63], s[20:21], v[50:51]
	v_add_f64_e32 v[0:1], v[38:39], v[0:1]
	v_add_f64_e32 v[34:35], v[40:41], v[34:35]
	;; [unrolled: 1-line block ×6, first 2 shown]
	v_fma_f64 v[60:61], v[64:65], s[22:23], v[125:126]
	v_fma_f64 v[54:55], v[64:65], s[28:29], v[137:138]
	;; [unrolled: 1-line block ×3, first 2 shown]
	v_fma_f64 v[40:41], v[64:65], s[2:3], -v[133:134]
	v_fma_f64 v[107:108], v[64:65], s[10:11], v[68:69]
	v_add_f64_e32 v[58:59], v[117:118], v[58:59]
	v_fma_f64 v[125:126], v[64:65], s[22:23], -v[125:126]
	v_fma_f64 v[91:92], v[64:65], s[28:29], -v[137:138]
	v_fma_f64 v[103:104], v[70:71], s[26:27], v[139:140]
	v_add_f64_e32 v[74:75], v[74:75], v[93:94]
	v_fma_f64 v[44:45], v[70:71], s[0:1], v[135:136]
	v_add_f64_e32 v[85:86], v[113:114], v[85:86]
	v_fma_f64 v[62:63], v[70:71], s[24:25], v[127:128]
	v_fma_f64 v[127:128], v[70:71], s[20:21], v[127:128]
	;; [unrolled: 1-line block ×3, first 2 shown]
	v_add_f64_e32 v[16:17], v[16:17], v[22:23]
	v_add_f64_e32 v[18:19], v[18:19], v[24:25]
	v_fma_f64 v[22:23], v[64:65], s[2:3], v[133:134]
	v_add_f64_e32 v[42:43], v[48:49], v[42:43]
	v_fma_f64 v[24:25], v[70:71], s[4:5], v[135:136]
	v_add_f64_e32 v[48:49], v[109:110], v[52:53]
	v_add_f64_e32 v[52:53], v[111:112], v[81:82]
	;; [unrolled: 1-line block ×8, first 2 shown]
	v_fma_f64 v[133:134], v[70:71], s[6:7], v[66:67]
	v_add_f64_e32 v[28:29], v[121:122], v[28:29]
	v_add_f64_e32 v[89:90], v[123:124], v[105:106]
	v_fma_f64 v[64:65], v[64:65], s[10:11], -v[68:69]
	v_fma_f64 v[66:67], v[70:71], s[12:13], v[66:67]
	v_add_f64_e32 v[0:1], v[46:47], v[0:1]
	v_add_f64_e32 v[34:35], v[50:51], v[34:35]
	;; [unrolled: 1-line block ×6, first 2 shown]
	v_fma_f64 v[70:71], v[77:78], s[30:31], v[143:144]
	v_fma_f64 v[50:51], v[77:78], s[4:5], v[147:148]
	;; [unrolled: 1-line block ×10, first 2 shown]
	v_fma_f64 v[95:96], v[72:73], s[22:23], -v[149:150]
	v_fma_f64 v[115:116], v[72:73], s[16:17], v[79:80]
	v_add_f64_e32 v[40:41], v[40:41], v[58:59]
	v_fma_f64 v[68:69], v[72:73], s[28:29], v[141:142]
	v_add_f64_e32 v[14:15], v[16:17], v[14:15]
	v_add_f64_e32 v[12:13], v[18:19], v[12:13]
	v_fma_f64 v[16:17], v[72:73], s[2:3], v[145:146]
	v_fma_f64 v[18:19], v[77:78], s[0:1], v[147:148]
	v_add_f64_e32 v[42:43], v[60:61], v[42:43]
	v_fma_f64 v[135:136], v[72:73], s[28:29], -v[141:142]
	v_fma_f64 v[46:47], v[72:73], s[2:3], -v[145:146]
	v_add_f64_e32 v[60:61], v[193:194], v[81:82]
	v_add_f64_e32 v[77:78], v[195:196], v[83:84]
	;; [unrolled: 1-line block ×6, first 2 shown]
	v_fma_f64 v[111:112], v[72:73], s[10:11], -v[153:154]
	v_add_f64_e32 v[28:29], v[107:108], v[28:29]
	v_add_f64_e32 v[58:59], v[133:134], v[89:90]
	v_fma_f64 v[72:73], v[72:73], s[16:17], -v[79:80]
	v_add_f64_e32 v[54:55], v[91:92], v[74:75]
	v_add_f64_e32 v[64:65], v[64:65], v[0:1]
	;; [unrolled: 1-line block ×34, first 2 shown]
	ds_store_b128 v248, v[14:17] offset:5824
	ds_store_b128 v248, v[22:25] offset:8736
	;; [unrolled: 1-line block ×9, first 2 shown]
	ds_store_b128 v248, v[6:9]
	ds_store_b128 v248, v[0:3] offset:2912
	global_wb scope:SCOPE_SE
	s_wait_dscnt 0x0
	s_barrier_signal -1
	s_barrier_wait -1
	global_inv scope:SCOPE_SE
	s_and_saveexec_b32 s0, vcc_lo
	s_cbranch_execz .LBB0_31
; %bb.30:
	v_lshl_add_u32 v28, v76, 4, 0
	v_dual_mov_b32 v77, 0 :: v_dual_add_nc_u32 v8, 0xb6, v76
	ds_load_b128 v[0:3], v28
	ds_load_b128 v[4:7], v28 offset:2912
	scratch_load_b64 v[12:13], off, off th:TH_LOAD_LU ; 8-byte Folded Reload
	v_mov_b32_e32 v9, v77
	v_lshlrev_b64_e32 v[10:11], 4, v[76:77]
	v_mov_b32_e32 v15, v77
	v_dual_mov_b32 v23, v77 :: v_dual_add_nc_u32 v24, 0x444, v76
	v_dual_mov_b32 v25, v77 :: v_dual_add_nc_u32 v14, 0x222, v76
	v_add_nc_u32_e32 v22, 0x38e, v76
	s_delay_alu instid0(VALU_DEP_1)
	v_lshlrev_b64_e32 v[22:23], 4, v[22:23]
	s_wait_loadcnt 0x0
	v_add_co_u32 v30, vcc_lo, s8, v12
	s_wait_alu 0xfffd
	v_add_co_ci_u32_e32 v31, vcc_lo, s9, v13, vcc_lo
	v_add_nc_u32_e32 v12, 0x16c, v76
	v_lshlrev_b64_e32 v[8:9], 4, v[8:9]
	v_add_co_u32 v10, vcc_lo, v30, v10
	v_mov_b32_e32 v13, v77
	s_wait_alu 0xfffd
	v_add_co_ci_u32_e32 v11, vcc_lo, v31, v11, vcc_lo
	s_delay_alu instid0(VALU_DEP_4)
	v_add_co_u32 v8, vcc_lo, v30, v8
	s_wait_alu 0xfffd
	v_add_co_ci_u32_e32 v9, vcc_lo, v31, v9, vcc_lo
	v_lshlrev_b64_e32 v[12:13], 4, v[12:13]
	s_wait_dscnt 0x1
	global_store_b128 v[10:11], v[0:3], off
	s_wait_dscnt 0x0
	global_store_b128 v[8:9], v[4:7], off
	v_dual_mov_b32 v9, v77 :: v_dual_add_nc_u32 v8, 0x2d8, v76
	ds_load_b128 v[0:3], v28 offset:5824
	ds_load_b128 v[4:7], v28 offset:8736
	v_add_co_u32 v16, vcc_lo, v30, v12
	s_wait_alu 0xfffd
	v_add_co_ci_u32_e32 v17, vcc_lo, v31, v13, vcc_lo
	v_lshlrev_b64_e32 v[18:19], 4, v[14:15]
	v_lshlrev_b64_e32 v[20:21], 4, v[8:9]
	ds_load_b128 v[8:11], v28 offset:11648
	ds_load_b128 v[12:15], v28 offset:14560
	v_add_co_u32 v18, vcc_lo, v30, v18
	s_wait_alu 0xfffd
	v_add_co_ci_u32_e32 v19, vcc_lo, v31, v19, vcc_lo
	v_add_co_u32 v20, vcc_lo, v30, v20
	s_wait_alu 0xfffd
	v_add_co_ci_u32_e32 v21, vcc_lo, v31, v21, vcc_lo
	v_add_co_u32 v22, vcc_lo, v30, v22
	s_wait_dscnt 0x3
	global_store_b128 v[16:17], v[0:3], off
	s_wait_dscnt 0x2
	global_store_b128 v[18:19], v[4:7], off
	v_dual_mov_b32 v3, v77 :: v_dual_add_nc_u32 v2, 0x4fa, v76
	s_wait_alu 0xfffd
	v_add_co_ci_u32_e32 v23, vcc_lo, v31, v23, vcc_lo
	v_lshlrev_b64_e32 v[0:1], 4, v[24:25]
	s_wait_dscnt 0x1
	global_store_b128 v[20:21], v[8:11], off
	s_wait_dscnt 0x0
	global_store_b128 v[22:23], v[12:15], off
	v_add_nc_u32_e32 v10, 0x5b0, v76
	v_lshlrev_b64_e32 v[8:9], 4, v[2:3]
	v_dual_mov_b32 v11, v77 :: v_dual_add_nc_u32 v24, 0x666, v76
	v_add_co_u32 v20, vcc_lo, v30, v0
	s_wait_alu 0xfffd
	v_add_co_ci_u32_e32 v21, vcc_lo, v31, v1, vcc_lo
	s_delay_alu instid0(VALU_DEP_4)
	v_add_co_u32 v22, vcc_lo, v30, v8
	ds_load_b128 v[0:3], v28 offset:17472
	ds_load_b128 v[4:7], v28 offset:20384
	s_wait_alu 0xfffd
	v_add_co_ci_u32_e32 v23, vcc_lo, v31, v9, vcc_lo
	v_lshlrev_b64_e32 v[26:27], 4, v[10:11]
	ds_load_b128 v[8:11], v28 offset:23296
	ds_load_b128 v[12:15], v28 offset:26208
	;; [unrolled: 1-line block ×3, first 2 shown]
	v_add_nc_u32_e32 v76, 0x71c, v76
	v_lshlrev_b64_e32 v[24:25], 4, v[24:25]
	v_add_co_u32 v26, vcc_lo, v30, v26
	s_delay_alu instid0(VALU_DEP_3) | instskip(SKIP_2) | instid1(VALU_DEP_4)
	v_lshlrev_b64_e32 v[28:29], 4, v[76:77]
	s_wait_alu 0xfffd
	v_add_co_ci_u32_e32 v27, vcc_lo, v31, v27, vcc_lo
	v_add_co_u32 v24, vcc_lo, v30, v24
	s_wait_alu 0xfffd
	v_add_co_ci_u32_e32 v25, vcc_lo, v31, v25, vcc_lo
	v_add_co_u32 v28, vcc_lo, v30, v28
	s_wait_alu 0xfffd
	v_add_co_ci_u32_e32 v29, vcc_lo, v31, v29, vcc_lo
	s_wait_dscnt 0x4
	global_store_b128 v[20:21], v[0:3], off
	s_wait_dscnt 0x3
	global_store_b128 v[22:23], v[4:7], off
	;; [unrolled: 2-line block ×5, first 2 shown]
.LBB0_31:
	s_nop 0
	s_sendmsg sendmsg(MSG_DEALLOC_VGPRS)
	s_endpgm
	.section	.rodata,"a",@progbits
	.p2align	6, 0x0
	.amdhsa_kernel fft_rtc_back_len2002_factors_2_13_7_11_wgs_182_tpt_182_halfLds_dp_ip_CI_unitstride_sbrr_C2R_dirReg
		.amdhsa_group_segment_fixed_size 0
		.amdhsa_private_segment_fixed_size 20
		.amdhsa_kernarg_size 88
		.amdhsa_user_sgpr_count 2
		.amdhsa_user_sgpr_dispatch_ptr 0
		.amdhsa_user_sgpr_queue_ptr 0
		.amdhsa_user_sgpr_kernarg_segment_ptr 1
		.amdhsa_user_sgpr_dispatch_id 0
		.amdhsa_user_sgpr_private_segment_size 0
		.amdhsa_wavefront_size32 1
		.amdhsa_uses_dynamic_stack 0
		.amdhsa_enable_private_segment 1
		.amdhsa_system_sgpr_workgroup_id_x 1
		.amdhsa_system_sgpr_workgroup_id_y 0
		.amdhsa_system_sgpr_workgroup_id_z 0
		.amdhsa_system_sgpr_workgroup_info 0
		.amdhsa_system_vgpr_workitem_id 0
		.amdhsa_next_free_vgpr 256
		.amdhsa_next_free_sgpr 44
		.amdhsa_reserve_vcc 1
		.amdhsa_float_round_mode_32 0
		.amdhsa_float_round_mode_16_64 0
		.amdhsa_float_denorm_mode_32 3
		.amdhsa_float_denorm_mode_16_64 3
		.amdhsa_fp16_overflow 0
		.amdhsa_workgroup_processor_mode 1
		.amdhsa_memory_ordered 1
		.amdhsa_forward_progress 0
		.amdhsa_round_robin_scheduling 0
		.amdhsa_exception_fp_ieee_invalid_op 0
		.amdhsa_exception_fp_denorm_src 0
		.amdhsa_exception_fp_ieee_div_zero 0
		.amdhsa_exception_fp_ieee_overflow 0
		.amdhsa_exception_fp_ieee_underflow 0
		.amdhsa_exception_fp_ieee_inexact 0
		.amdhsa_exception_int_div_zero 0
	.end_amdhsa_kernel
	.text
.Lfunc_end0:
	.size	fft_rtc_back_len2002_factors_2_13_7_11_wgs_182_tpt_182_halfLds_dp_ip_CI_unitstride_sbrr_C2R_dirReg, .Lfunc_end0-fft_rtc_back_len2002_factors_2_13_7_11_wgs_182_tpt_182_halfLds_dp_ip_CI_unitstride_sbrr_C2R_dirReg
                                        ; -- End function
	.section	.AMDGPU.csdata,"",@progbits
; Kernel info:
; codeLenInByte = 12360
; NumSgprs: 46
; NumVgprs: 256
; ScratchSize: 20
; MemoryBound: 0
; FloatMode: 240
; IeeeMode: 1
; LDSByteSize: 0 bytes/workgroup (compile time only)
; SGPRBlocks: 5
; VGPRBlocks: 31
; NumSGPRsForWavesPerEU: 46
; NumVGPRsForWavesPerEU: 256
; Occupancy: 5
; WaveLimiterHint : 1
; COMPUTE_PGM_RSRC2:SCRATCH_EN: 1
; COMPUTE_PGM_RSRC2:USER_SGPR: 2
; COMPUTE_PGM_RSRC2:TRAP_HANDLER: 0
; COMPUTE_PGM_RSRC2:TGID_X_EN: 1
; COMPUTE_PGM_RSRC2:TGID_Y_EN: 0
; COMPUTE_PGM_RSRC2:TGID_Z_EN: 0
; COMPUTE_PGM_RSRC2:TIDIG_COMP_CNT: 0
	.text
	.p2alignl 7, 3214868480
	.fill 96, 4, 3214868480
	.type	__hip_cuid_8c2813ef8fbf4523,@object ; @__hip_cuid_8c2813ef8fbf4523
	.section	.bss,"aw",@nobits
	.globl	__hip_cuid_8c2813ef8fbf4523
__hip_cuid_8c2813ef8fbf4523:
	.byte	0                               ; 0x0
	.size	__hip_cuid_8c2813ef8fbf4523, 1

	.ident	"AMD clang version 19.0.0git (https://github.com/RadeonOpenCompute/llvm-project roc-6.4.0 25133 c7fe45cf4b819c5991fe208aaa96edf142730f1d)"
	.section	".note.GNU-stack","",@progbits
	.addrsig
	.addrsig_sym __hip_cuid_8c2813ef8fbf4523
	.amdgpu_metadata
---
amdhsa.kernels:
  - .args:
      - .actual_access:  read_only
        .address_space:  global
        .offset:         0
        .size:           8
        .value_kind:     global_buffer
      - .offset:         8
        .size:           8
        .value_kind:     by_value
      - .actual_access:  read_only
        .address_space:  global
        .offset:         16
        .size:           8
        .value_kind:     global_buffer
      - .actual_access:  read_only
        .address_space:  global
        .offset:         24
        .size:           8
        .value_kind:     global_buffer
      - .offset:         32
        .size:           8
        .value_kind:     by_value
      - .actual_access:  read_only
        .address_space:  global
        .offset:         40
        .size:           8
        .value_kind:     global_buffer
      - .actual_access:  read_only
        .address_space:  global
        .offset:         48
        .size:           8
        .value_kind:     global_buffer
      - .offset:         56
        .size:           4
        .value_kind:     by_value
      - .actual_access:  read_only
        .address_space:  global
        .offset:         64
        .size:           8
        .value_kind:     global_buffer
      - .actual_access:  read_only
        .address_space:  global
        .offset:         72
        .size:           8
        .value_kind:     global_buffer
      - .address_space:  global
        .offset:         80
        .size:           8
        .value_kind:     global_buffer
    .group_segment_fixed_size: 0
    .kernarg_segment_align: 8
    .kernarg_segment_size: 88
    .language:       OpenCL C
    .language_version:
      - 2
      - 0
    .max_flat_workgroup_size: 182
    .name:           fft_rtc_back_len2002_factors_2_13_7_11_wgs_182_tpt_182_halfLds_dp_ip_CI_unitstride_sbrr_C2R_dirReg
    .private_segment_fixed_size: 20
    .sgpr_count:     46
    .sgpr_spill_count: 0
    .symbol:         fft_rtc_back_len2002_factors_2_13_7_11_wgs_182_tpt_182_halfLds_dp_ip_CI_unitstride_sbrr_C2R_dirReg.kd
    .uniform_work_group_size: 1
    .uses_dynamic_stack: false
    .vgpr_count:     256
    .vgpr_spill_count: 4
    .wavefront_size: 32
    .workgroup_processor_mode: 1
amdhsa.target:   amdgcn-amd-amdhsa--gfx1201
amdhsa.version:
  - 1
  - 2
...

	.end_amdgpu_metadata
